;; amdgpu-corpus repo=ROCm/AMDMIGraphX kind=compiled arch=gfx906 opt=O3
	.text
	.amdgcn_target "amdgcn-amd-amdhsa--gfx906"
	.amdhsa_code_object_version 6
	.p2align	2                               ; -- Begin function _ZNK8migraphx13basic_printerIZNS_4coutEvEUlT_E_ElsEPKc
	.type	_ZNK8migraphx13basic_printerIZNS_4coutEvEUlT_E_ElsEPKc,@function
_ZNK8migraphx13basic_printerIZNS_4coutEvEUlT_E_ElsEPKc: ; @_ZNK8migraphx13basic_printerIZNS_4coutEvEUlT_E_ElsEPKc
; %bb.0:
	s_waitcnt vmcnt(0) expcnt(0) lgkmcnt(0)
	s_load_dwordx2 s[6:7], s[8:9], 0x50
	v_mbcnt_lo_u32_b32 v2, -1, 0
	v_mbcnt_hi_u32_b32 v35, -1, v2
	v_readfirstlane_b32 s4, v35
	v_mov_b32_e32 v7, 0
	v_mov_b32_e32 v8, 0
	v_cmp_eq_u32_e64 s[4:5], s4, v35
	s_and_saveexec_b64 s[8:9], s[4:5]
	s_cbranch_execz .LBB0_6
; %bb.1:
	v_mov_b32_e32 v2, 0
	s_waitcnt lgkmcnt(0)
	global_load_dwordx2 v[5:6], v2, s[6:7] offset:24 glc
	s_waitcnt vmcnt(0)
	buffer_wbinvl1_vol
	global_load_dwordx2 v[3:4], v2, s[6:7] offset:40
	global_load_dwordx2 v[7:8], v2, s[6:7]
	s_waitcnt vmcnt(1)
	v_and_b32_e32 v3, v3, v5
	v_and_b32_e32 v4, v4, v6
	v_mul_lo_u32 v4, v4, 24
	v_mul_hi_u32 v9, v3, 24
	v_mul_lo_u32 v3, v3, 24
	v_add_u32_e32 v4, v9, v4
	s_waitcnt vmcnt(0)
	v_add_co_u32_e32 v3, vcc, v7, v3
	v_addc_co_u32_e32 v4, vcc, v8, v4, vcc
	global_load_dwordx2 v[3:4], v[3:4], off glc
	s_waitcnt vmcnt(0)
	global_atomic_cmpswap_x2 v[7:8], v2, v[3:6], s[6:7] offset:24 glc
	s_waitcnt vmcnt(0)
	buffer_wbinvl1_vol
	v_cmp_ne_u64_e32 vcc, v[7:8], v[5:6]
	s_and_saveexec_b64 s[10:11], vcc
	s_cbranch_execz .LBB0_5
; %bb.2:
	s_mov_b64 s[12:13], 0
.LBB0_3:                                ; =>This Inner Loop Header: Depth=1
	s_sleep 1
	global_load_dwordx2 v[3:4], v2, s[6:7] offset:40
	global_load_dwordx2 v[9:10], v2, s[6:7]
	v_mov_b32_e32 v5, v7
	v_mov_b32_e32 v6, v8
	s_waitcnt vmcnt(1)
	v_and_b32_e32 v3, v3, v5
	s_waitcnt vmcnt(0)
	v_mad_u64_u32 v[7:8], s[14:15], v3, 24, v[9:10]
	v_and_b32_e32 v4, v4, v6
	v_mov_b32_e32 v3, v8
	v_mad_u64_u32 v[3:4], s[14:15], v4, 24, v[3:4]
	v_mov_b32_e32 v8, v3
	global_load_dwordx2 v[3:4], v[7:8], off glc
	s_waitcnt vmcnt(0)
	global_atomic_cmpswap_x2 v[7:8], v2, v[3:6], s[6:7] offset:24 glc
	s_waitcnt vmcnt(0)
	buffer_wbinvl1_vol
	v_cmp_eq_u64_e32 vcc, v[7:8], v[5:6]
	s_or_b64 s[12:13], vcc, s[12:13]
	s_andn2_b64 exec, exec, s[12:13]
	s_cbranch_execnz .LBB0_3
; %bb.4:
	s_or_b64 exec, exec, s[12:13]
.LBB0_5:
	s_or_b64 exec, exec, s[10:11]
.LBB0_6:
	s_or_b64 exec, exec, s[8:9]
	v_mov_b32_e32 v6, 0
	s_waitcnt lgkmcnt(0)
	global_load_dwordx2 v[9:10], v6, s[6:7] offset:40
	global_load_dwordx4 v[2:5], v6, s[6:7]
	v_readfirstlane_b32 s8, v7
	v_readfirstlane_b32 s9, v8
	s_mov_b64 s[10:11], exec
	s_waitcnt vmcnt(1)
	v_readfirstlane_b32 s12, v9
	v_readfirstlane_b32 s13, v10
	s_and_b64 s[12:13], s[8:9], s[12:13]
	s_mul_i32 s14, s13, 24
	s_mul_hi_u32 s15, s12, 24
	s_mul_i32 s16, s12, 24
	s_add_i32 s14, s15, s14
	v_mov_b32_e32 v7, s14
	s_waitcnt vmcnt(0)
	v_add_co_u32_e32 v9, vcc, s16, v2
	v_addc_co_u32_e32 v10, vcc, v3, v7, vcc
	s_and_saveexec_b64 s[14:15], s[4:5]
	s_cbranch_execz .LBB0_8
; %bb.7:
	v_mov_b32_e32 v12, s11
	v_mov_b32_e32 v11, s10
	;; [unrolled: 1-line block ×4, first 2 shown]
	global_store_dwordx4 v[9:10], v[11:14], off offset:8
.LBB0_8:
	s_or_b64 exec, exec, s[14:15]
	s_lshl_b64 s[10:11], s[12:13], 12
	v_mov_b32_e32 v7, s11
	v_add_co_u32_e32 v4, vcc, s10, v4
	v_addc_co_u32_e32 v13, vcc, v5, v7, vcc
	s_mov_b32 s12, 0
	v_lshlrev_b32_e32 v34, 6, v35
	v_mov_b32_e32 v5, 33
	v_mov_b32_e32 v7, v6
	;; [unrolled: 1-line block ×3, first 2 shown]
	v_readfirstlane_b32 s10, v4
	v_readfirstlane_b32 s11, v13
	v_add_co_u32_e32 v11, vcc, v4, v34
	s_mov_b32 s13, s12
	s_mov_b32 s14, s12
	s_mov_b32 s15, s12
	s_nop 0
	global_store_dwordx4 v34, v[5:8], s[10:11]
	v_mov_b32_e32 v4, s12
	v_addc_co_u32_e32 v12, vcc, 0, v13, vcc
	v_mov_b32_e32 v5, s13
	v_mov_b32_e32 v6, s14
	;; [unrolled: 1-line block ×3, first 2 shown]
	global_store_dwordx4 v34, v[4:7], s[10:11] offset:16
	global_store_dwordx4 v34, v[4:7], s[10:11] offset:32
	;; [unrolled: 1-line block ×3, first 2 shown]
	s_and_saveexec_b64 s[10:11], s[4:5]
	s_cbranch_execz .LBB0_16
; %bb.9:
	v_mov_b32_e32 v8, 0
	global_load_dwordx2 v[15:16], v8, s[6:7] offset:32 glc
	global_load_dwordx2 v[4:5], v8, s[6:7] offset:40
	v_mov_b32_e32 v13, s8
	v_mov_b32_e32 v14, s9
	s_waitcnt vmcnt(0)
	v_and_b32_e32 v4, s8, v4
	v_and_b32_e32 v5, s9, v5
	v_mul_lo_u32 v5, v5, 24
	v_mul_hi_u32 v6, v4, 24
	v_mul_lo_u32 v4, v4, 24
	v_add_u32_e32 v5, v6, v5
	v_add_co_u32_e32 v6, vcc, v2, v4
	v_addc_co_u32_e32 v7, vcc, v3, v5, vcc
	global_store_dwordx2 v[6:7], v[15:16], off
	s_waitcnt vmcnt(0)
	global_atomic_cmpswap_x2 v[4:5], v8, v[13:16], s[6:7] offset:32 glc
	s_waitcnt vmcnt(0)
	v_cmp_ne_u64_e32 vcc, v[4:5], v[15:16]
	s_and_saveexec_b64 s[12:13], vcc
	s_cbranch_execz .LBB0_12
; %bb.10:
	s_mov_b64 s[14:15], 0
.LBB0_11:                               ; =>This Inner Loop Header: Depth=1
	s_sleep 1
	global_store_dwordx2 v[6:7], v[4:5], off
	v_mov_b32_e32 v2, s8
	v_mov_b32_e32 v3, s9
	s_waitcnt vmcnt(0)
	global_atomic_cmpswap_x2 v[2:3], v8, v[2:5], s[6:7] offset:32 glc
	s_waitcnt vmcnt(0)
	v_cmp_eq_u64_e32 vcc, v[2:3], v[4:5]
	v_mov_b32_e32 v5, v3
	s_or_b64 s[14:15], vcc, s[14:15]
	v_mov_b32_e32 v4, v2
	s_andn2_b64 exec, exec, s[14:15]
	s_cbranch_execnz .LBB0_11
.LBB0_12:
	s_or_b64 exec, exec, s[12:13]
	v_mov_b32_e32 v5, 0
	global_load_dwordx2 v[2:3], v5, s[6:7] offset:16
	s_mov_b64 s[12:13], exec
	v_mbcnt_lo_u32_b32 v4, s12, 0
	v_mbcnt_hi_u32_b32 v4, s13, v4
	v_cmp_eq_u32_e32 vcc, 0, v4
	s_and_saveexec_b64 s[14:15], vcc
	s_cbranch_execz .LBB0_14
; %bb.13:
	s_bcnt1_i32_b64 s12, s[12:13]
	v_mov_b32_e32 v4, s12
	s_waitcnt vmcnt(0)
	global_atomic_add_x2 v[2:3], v[4:5], off offset:8
.LBB0_14:
	s_or_b64 exec, exec, s[14:15]
	s_waitcnt vmcnt(0)
	global_load_dwordx2 v[4:5], v[2:3], off offset:16
	s_waitcnt vmcnt(0)
	v_cmp_eq_u64_e32 vcc, 0, v[4:5]
	s_cbranch_vccnz .LBB0_16
; %bb.15:
	global_load_dword v2, v[2:3], off offset:24
	v_mov_b32_e32 v3, 0
	s_waitcnt vmcnt(0)
	global_store_dwordx2 v[4:5], v[2:3], off
	v_and_b32_e32 v2, 0xffffff, v2
	v_readfirstlane_b32 m0, v2
	s_sendmsg sendmsg(MSG_INTERRUPT)
.LBB0_16:
	s_or_b64 exec, exec, s[10:11]
	s_branch .LBB0_20
.LBB0_17:                               ;   in Loop: Header=BB0_20 Depth=1
	s_or_b64 exec, exec, s[10:11]
	v_readfirstlane_b32 s10, v2
	s_cmp_eq_u32 s10, 0
	s_cbranch_scc1 .LBB0_19
; %bb.18:                               ;   in Loop: Header=BB0_20 Depth=1
	s_sleep 1
	s_cbranch_execnz .LBB0_20
	s_branch .LBB0_22
.LBB0_19:
	s_branch .LBB0_22
.LBB0_20:                               ; =>This Inner Loop Header: Depth=1
	v_mov_b32_e32 v2, 1
	s_and_saveexec_b64 s[10:11], s[4:5]
	s_cbranch_execz .LBB0_17
; %bb.21:                               ;   in Loop: Header=BB0_20 Depth=1
	global_load_dword v2, v[9:10], off offset:20 glc
	s_waitcnt vmcnt(0)
	buffer_wbinvl1_vol
	v_and_b32_e32 v2, 1, v2
	s_branch .LBB0_17
.LBB0_22:
	global_load_dwordx2 v[6:7], v[11:12], off
	s_and_saveexec_b64 s[10:11], s[4:5]
	s_cbranch_execz .LBB0_25
; %bb.23:
	v_mov_b32_e32 v10, 0
	global_load_dwordx2 v[4:5], v10, s[6:7] offset:40
	global_load_dwordx2 v[11:12], v10, s[6:7] offset:24 glc
	global_load_dwordx2 v[8:9], v10, s[6:7]
	v_mov_b32_e32 v3, s9
	s_mov_b64 s[4:5], 0
	s_waitcnt vmcnt(2)
	v_add_co_u32_e32 v13, vcc, 1, v4
	v_addc_co_u32_e32 v14, vcc, 0, v5, vcc
	v_add_co_u32_e32 v2, vcc, s8, v13
	v_addc_co_u32_e32 v3, vcc, v14, v3, vcc
	v_cmp_eq_u64_e32 vcc, 0, v[2:3]
	v_cndmask_b32_e32 v3, v3, v14, vcc
	v_cndmask_b32_e32 v2, v2, v13, vcc
	v_and_b32_e32 v5, v3, v5
	v_and_b32_e32 v4, v2, v4
	v_mul_lo_u32 v5, v5, 24
	v_mul_hi_u32 v13, v4, 24
	v_mul_lo_u32 v14, v4, 24
	s_waitcnt vmcnt(1)
	v_mov_b32_e32 v4, v11
	v_add_u32_e32 v5, v13, v5
	s_waitcnt vmcnt(0)
	v_add_co_u32_e32 v8, vcc, v8, v14
	v_addc_co_u32_e32 v9, vcc, v9, v5, vcc
	global_store_dwordx2 v[8:9], v[11:12], off
	v_mov_b32_e32 v5, v12
	s_waitcnt vmcnt(0)
	global_atomic_cmpswap_x2 v[4:5], v10, v[2:5], s[6:7] offset:24 glc
	s_waitcnt vmcnt(0)
	v_cmp_ne_u64_e32 vcc, v[4:5], v[11:12]
	s_and_b64 exec, exec, vcc
	s_cbranch_execz .LBB0_25
.LBB0_24:                               ; =>This Inner Loop Header: Depth=1
	s_sleep 1
	global_store_dwordx2 v[8:9], v[4:5], off
	s_waitcnt vmcnt(0)
	global_atomic_cmpswap_x2 v[11:12], v10, v[2:5], s[6:7] offset:24 glc
	s_waitcnt vmcnt(0)
	v_cmp_eq_u64_e32 vcc, v[11:12], v[4:5]
	v_mov_b32_e32 v4, v11
	s_or_b64 s[4:5], vcc, s[4:5]
	v_mov_b32_e32 v5, v12
	s_andn2_b64 exec, exec, s[4:5]
	s_cbranch_execnz .LBB0_24
.LBB0_25:
	s_or_b64 exec, exec, s[10:11]
	s_getpc_b64 s[8:9]
	s_add_u32 s8, s8, .str.5@rel32@lo+4
	s_addc_u32 s9, s9, .str.5@rel32@hi+12
	s_cmp_lg_u64 s[8:9], 0
	s_cbranch_scc0 .LBB0_110
; %bb.26:
	s_waitcnt vmcnt(0)
	v_and_b32_e32 v31, 2, v6
	v_mov_b32_e32 v28, 0
	v_and_b32_e32 v2, -3, v6
	v_mov_b32_e32 v3, v7
	s_mov_b64 s[10:11], 3
	v_mov_b32_e32 v10, 2
	v_mov_b32_e32 v11, 1
	s_branch .LBB0_28
.LBB0_27:                               ;   in Loop: Header=BB0_28 Depth=1
	s_or_b64 exec, exec, s[16:17]
	s_sub_u32 s10, s10, s12
	s_subb_u32 s11, s11, s13
	s_add_u32 s8, s8, s12
	s_addc_u32 s9, s9, s13
	s_cmp_lg_u64 s[10:11], 0
	s_cbranch_scc0 .LBB0_109
.LBB0_28:                               ; =>This Loop Header: Depth=1
                                        ;     Child Loop BB0_31 Depth 2
                                        ;     Child Loop BB0_38 Depth 2
	;; [unrolled: 1-line block ×11, first 2 shown]
	v_cmp_lt_u64_e64 s[4:5], s[10:11], 56
	v_cmp_gt_u64_e64 s[14:15], s[10:11], 7
	s_and_b64 s[4:5], s[4:5], exec
	s_cselect_b32 s13, s11, 0
	s_cselect_b32 s12, s10, 56
	s_and_b64 vcc, exec, s[14:15]
	s_cbranch_vccnz .LBB0_33
; %bb.29:                               ;   in Loop: Header=BB0_28 Depth=1
	s_waitcnt vmcnt(0)
	v_mov_b32_e32 v4, 0
	s_cmp_eq_u64 s[10:11], 0
	v_mov_b32_e32 v5, 0
	s_mov_b64 s[4:5], 0
	s_cbranch_scc1 .LBB0_32
; %bb.30:                               ;   in Loop: Header=BB0_28 Depth=1
	v_mov_b32_e32 v4, 0
	s_lshl_b64 s[14:15], s[12:13], 3
	s_mov_b64 s[16:17], 0
	v_mov_b32_e32 v5, 0
	s_mov_b64 s[18:19], s[8:9]
.LBB0_31:                               ;   Parent Loop BB0_28 Depth=1
                                        ; =>  This Inner Loop Header: Depth=2
	global_load_ubyte v8, v28, s[18:19]
	s_waitcnt vmcnt(0)
	v_and_b32_e32 v27, 0xffff, v8
	v_lshlrev_b64 v[8:9], s16, v[27:28]
	s_add_u32 s16, s16, 8
	s_addc_u32 s17, s17, 0
	s_add_u32 s18, s18, 1
	s_addc_u32 s19, s19, 0
	v_or_b32_e32 v4, v8, v4
	s_cmp_lg_u32 s14, s16
	v_or_b32_e32 v5, v9, v5
	s_cbranch_scc1 .LBB0_31
.LBB0_32:                               ;   in Loop: Header=BB0_28 Depth=1
	s_mov_b32 s18, 0
	s_andn2_b64 vcc, exec, s[4:5]
	s_mov_b64 s[4:5], s[8:9]
	s_cbranch_vccz .LBB0_34
	s_branch .LBB0_35
.LBB0_33:                               ;   in Loop: Header=BB0_28 Depth=1
                                        ; implicit-def: $vgpr4_vgpr5
                                        ; implicit-def: $sgpr18
	s_mov_b64 s[4:5], s[8:9]
.LBB0_34:                               ;   in Loop: Header=BB0_28 Depth=1
	global_load_dwordx2 v[4:5], v28, s[8:9]
	s_add_i32 s18, s12, -8
	s_add_u32 s4, s8, 8
	s_addc_u32 s5, s9, 0
.LBB0_35:                               ;   in Loop: Header=BB0_28 Depth=1
	s_cmp_gt_u32 s18, 7
	s_cbranch_scc1 .LBB0_39
; %bb.36:                               ;   in Loop: Header=BB0_28 Depth=1
	s_cmp_eq_u32 s18, 0
	s_cbranch_scc1 .LBB0_40
; %bb.37:                               ;   in Loop: Header=BB0_28 Depth=1
	v_mov_b32_e32 v12, 0
	s_mov_b64 s[14:15], 0
	v_mov_b32_e32 v13, 0
	s_mov_b64 s[16:17], 0
.LBB0_38:                               ;   Parent Loop BB0_28 Depth=1
                                        ; =>  This Inner Loop Header: Depth=2
	s_add_u32 s20, s4, s16
	s_addc_u32 s21, s5, s17
	global_load_ubyte v8, v28, s[20:21]
	s_add_u32 s16, s16, 1
	s_addc_u32 s17, s17, 0
	s_waitcnt vmcnt(0)
	v_and_b32_e32 v27, 0xffff, v8
	v_lshlrev_b64 v[8:9], s14, v[27:28]
	s_add_u32 s14, s14, 8
	s_addc_u32 s15, s15, 0
	v_or_b32_e32 v12, v8, v12
	s_cmp_lg_u32 s18, s16
	v_or_b32_e32 v13, v9, v13
	s_cbranch_scc1 .LBB0_38
	s_branch .LBB0_41
.LBB0_39:                               ;   in Loop: Header=BB0_28 Depth=1
                                        ; implicit-def: $vgpr12_vgpr13
                                        ; implicit-def: $sgpr19
	s_branch .LBB0_42
.LBB0_40:                               ;   in Loop: Header=BB0_28 Depth=1
	v_mov_b32_e32 v12, 0
	v_mov_b32_e32 v13, 0
.LBB0_41:                               ;   in Loop: Header=BB0_28 Depth=1
	s_mov_b32 s19, 0
	s_cbranch_execnz .LBB0_43
.LBB0_42:                               ;   in Loop: Header=BB0_28 Depth=1
	global_load_dwordx2 v[12:13], v28, s[4:5]
	s_add_i32 s19, s18, -8
	s_add_u32 s4, s4, 8
	s_addc_u32 s5, s5, 0
.LBB0_43:                               ;   in Loop: Header=BB0_28 Depth=1
	s_cmp_gt_u32 s19, 7
	s_cbranch_scc1 .LBB0_47
; %bb.44:                               ;   in Loop: Header=BB0_28 Depth=1
	s_cmp_eq_u32 s19, 0
	s_cbranch_scc1 .LBB0_48
; %bb.45:                               ;   in Loop: Header=BB0_28 Depth=1
	v_mov_b32_e32 v14, 0
	s_mov_b64 s[14:15], 0
	v_mov_b32_e32 v15, 0
	s_mov_b64 s[16:17], 0
.LBB0_46:                               ;   Parent Loop BB0_28 Depth=1
                                        ; =>  This Inner Loop Header: Depth=2
	s_add_u32 s20, s4, s16
	s_addc_u32 s21, s5, s17
	global_load_ubyte v8, v28, s[20:21]
	s_add_u32 s16, s16, 1
	s_addc_u32 s17, s17, 0
	s_waitcnt vmcnt(0)
	v_and_b32_e32 v27, 0xffff, v8
	v_lshlrev_b64 v[8:9], s14, v[27:28]
	s_add_u32 s14, s14, 8
	s_addc_u32 s15, s15, 0
	v_or_b32_e32 v14, v8, v14
	s_cmp_lg_u32 s19, s16
	v_or_b32_e32 v15, v9, v15
	s_cbranch_scc1 .LBB0_46
	s_branch .LBB0_49
.LBB0_47:                               ;   in Loop: Header=BB0_28 Depth=1
                                        ; implicit-def: $sgpr18
	s_branch .LBB0_50
.LBB0_48:                               ;   in Loop: Header=BB0_28 Depth=1
	v_mov_b32_e32 v14, 0
	v_mov_b32_e32 v15, 0
.LBB0_49:                               ;   in Loop: Header=BB0_28 Depth=1
	s_mov_b32 s18, 0
	s_cbranch_execnz .LBB0_51
.LBB0_50:                               ;   in Loop: Header=BB0_28 Depth=1
	global_load_dwordx2 v[14:15], v28, s[4:5]
	s_add_i32 s18, s19, -8
	s_add_u32 s4, s4, 8
	s_addc_u32 s5, s5, 0
.LBB0_51:                               ;   in Loop: Header=BB0_28 Depth=1
	s_cmp_gt_u32 s18, 7
	s_cbranch_scc1 .LBB0_55
; %bb.52:                               ;   in Loop: Header=BB0_28 Depth=1
	s_cmp_eq_u32 s18, 0
	s_cbranch_scc1 .LBB0_56
; %bb.53:                               ;   in Loop: Header=BB0_28 Depth=1
	v_mov_b32_e32 v16, 0
	s_mov_b64 s[14:15], 0
	v_mov_b32_e32 v17, 0
	s_mov_b64 s[16:17], 0
.LBB0_54:                               ;   Parent Loop BB0_28 Depth=1
                                        ; =>  This Inner Loop Header: Depth=2
	s_add_u32 s20, s4, s16
	s_addc_u32 s21, s5, s17
	global_load_ubyte v8, v28, s[20:21]
	s_add_u32 s16, s16, 1
	s_addc_u32 s17, s17, 0
	s_waitcnt vmcnt(0)
	v_and_b32_e32 v27, 0xffff, v8
	v_lshlrev_b64 v[8:9], s14, v[27:28]
	s_add_u32 s14, s14, 8
	s_addc_u32 s15, s15, 0
	v_or_b32_e32 v16, v8, v16
	s_cmp_lg_u32 s18, s16
	v_or_b32_e32 v17, v9, v17
	s_cbranch_scc1 .LBB0_54
	s_branch .LBB0_57
.LBB0_55:                               ;   in Loop: Header=BB0_28 Depth=1
                                        ; implicit-def: $vgpr16_vgpr17
                                        ; implicit-def: $sgpr19
	s_branch .LBB0_58
.LBB0_56:                               ;   in Loop: Header=BB0_28 Depth=1
	v_mov_b32_e32 v16, 0
	v_mov_b32_e32 v17, 0
.LBB0_57:                               ;   in Loop: Header=BB0_28 Depth=1
	s_mov_b32 s19, 0
	s_cbranch_execnz .LBB0_59
.LBB0_58:                               ;   in Loop: Header=BB0_28 Depth=1
	global_load_dwordx2 v[16:17], v28, s[4:5]
	s_add_i32 s19, s18, -8
	s_add_u32 s4, s4, 8
	s_addc_u32 s5, s5, 0
.LBB0_59:                               ;   in Loop: Header=BB0_28 Depth=1
	s_cmp_gt_u32 s19, 7
	s_cbranch_scc1 .LBB0_63
; %bb.60:                               ;   in Loop: Header=BB0_28 Depth=1
	s_cmp_eq_u32 s19, 0
	s_cbranch_scc1 .LBB0_64
; %bb.61:                               ;   in Loop: Header=BB0_28 Depth=1
	v_mov_b32_e32 v18, 0
	s_mov_b64 s[14:15], 0
	v_mov_b32_e32 v19, 0
	s_mov_b64 s[16:17], 0
.LBB0_62:                               ;   Parent Loop BB0_28 Depth=1
                                        ; =>  This Inner Loop Header: Depth=2
	s_add_u32 s20, s4, s16
	s_addc_u32 s21, s5, s17
	global_load_ubyte v8, v28, s[20:21]
	s_add_u32 s16, s16, 1
	s_addc_u32 s17, s17, 0
	s_waitcnt vmcnt(0)
	v_and_b32_e32 v27, 0xffff, v8
	v_lshlrev_b64 v[8:9], s14, v[27:28]
	s_add_u32 s14, s14, 8
	s_addc_u32 s15, s15, 0
	v_or_b32_e32 v18, v8, v18
	s_cmp_lg_u32 s19, s16
	v_or_b32_e32 v19, v9, v19
	s_cbranch_scc1 .LBB0_62
	s_branch .LBB0_65
.LBB0_63:                               ;   in Loop: Header=BB0_28 Depth=1
                                        ; implicit-def: $sgpr18
	s_branch .LBB0_66
.LBB0_64:                               ;   in Loop: Header=BB0_28 Depth=1
	v_mov_b32_e32 v18, 0
	v_mov_b32_e32 v19, 0
.LBB0_65:                               ;   in Loop: Header=BB0_28 Depth=1
	s_mov_b32 s18, 0
	s_cbranch_execnz .LBB0_67
.LBB0_66:                               ;   in Loop: Header=BB0_28 Depth=1
	global_load_dwordx2 v[18:19], v28, s[4:5]
	s_add_i32 s18, s19, -8
	s_add_u32 s4, s4, 8
	s_addc_u32 s5, s5, 0
.LBB0_67:                               ;   in Loop: Header=BB0_28 Depth=1
	s_cmp_gt_u32 s18, 7
	s_cbranch_scc1 .LBB0_71
; %bb.68:                               ;   in Loop: Header=BB0_28 Depth=1
	s_cmp_eq_u32 s18, 0
	s_cbranch_scc1 .LBB0_72
; %bb.69:                               ;   in Loop: Header=BB0_28 Depth=1
	v_mov_b32_e32 v20, 0
	s_mov_b64 s[14:15], 0
	v_mov_b32_e32 v21, 0
	s_mov_b64 s[16:17], 0
.LBB0_70:                               ;   Parent Loop BB0_28 Depth=1
                                        ; =>  This Inner Loop Header: Depth=2
	s_add_u32 s20, s4, s16
	s_addc_u32 s21, s5, s17
	global_load_ubyte v8, v28, s[20:21]
	s_add_u32 s16, s16, 1
	s_addc_u32 s17, s17, 0
	s_waitcnt vmcnt(0)
	v_and_b32_e32 v27, 0xffff, v8
	v_lshlrev_b64 v[8:9], s14, v[27:28]
	s_add_u32 s14, s14, 8
	s_addc_u32 s15, s15, 0
	v_or_b32_e32 v20, v8, v20
	s_cmp_lg_u32 s18, s16
	v_or_b32_e32 v21, v9, v21
	s_cbranch_scc1 .LBB0_70
	s_branch .LBB0_73
.LBB0_71:                               ;   in Loop: Header=BB0_28 Depth=1
                                        ; implicit-def: $vgpr20_vgpr21
                                        ; implicit-def: $sgpr19
	s_branch .LBB0_74
.LBB0_72:                               ;   in Loop: Header=BB0_28 Depth=1
	v_mov_b32_e32 v20, 0
	v_mov_b32_e32 v21, 0
.LBB0_73:                               ;   in Loop: Header=BB0_28 Depth=1
	s_mov_b32 s19, 0
	s_cbranch_execnz .LBB0_75
.LBB0_74:                               ;   in Loop: Header=BB0_28 Depth=1
	global_load_dwordx2 v[20:21], v28, s[4:5]
	s_add_i32 s19, s18, -8
	s_add_u32 s4, s4, 8
	s_addc_u32 s5, s5, 0
.LBB0_75:                               ;   in Loop: Header=BB0_28 Depth=1
	s_cmp_gt_u32 s19, 7
	s_cbranch_scc1 .LBB0_79
; %bb.76:                               ;   in Loop: Header=BB0_28 Depth=1
	s_cmp_eq_u32 s19, 0
	s_cbranch_scc1 .LBB0_80
; %bb.77:                               ;   in Loop: Header=BB0_28 Depth=1
	v_mov_b32_e32 v22, 0
	s_mov_b64 s[14:15], 0
	v_mov_b32_e32 v23, 0
	s_mov_b64 s[16:17], s[4:5]
.LBB0_78:                               ;   Parent Loop BB0_28 Depth=1
                                        ; =>  This Inner Loop Header: Depth=2
	global_load_ubyte v8, v28, s[16:17]
	s_add_i32 s19, s19, -1
	s_waitcnt vmcnt(0)
	v_and_b32_e32 v27, 0xffff, v8
	v_lshlrev_b64 v[8:9], s14, v[27:28]
	s_add_u32 s14, s14, 8
	s_addc_u32 s15, s15, 0
	s_add_u32 s16, s16, 1
	s_addc_u32 s17, s17, 0
	v_or_b32_e32 v22, v8, v22
	s_cmp_lg_u32 s19, 0
	v_or_b32_e32 v23, v9, v23
	s_cbranch_scc1 .LBB0_78
	s_branch .LBB0_81
.LBB0_79:                               ;   in Loop: Header=BB0_28 Depth=1
	s_branch .LBB0_82
.LBB0_80:                               ;   in Loop: Header=BB0_28 Depth=1
	v_mov_b32_e32 v22, 0
	v_mov_b32_e32 v23, 0
.LBB0_81:                               ;   in Loop: Header=BB0_28 Depth=1
	s_cbranch_execnz .LBB0_83
.LBB0_82:                               ;   in Loop: Header=BB0_28 Depth=1
	global_load_dwordx2 v[22:23], v28, s[4:5]
.LBB0_83:                               ;   in Loop: Header=BB0_28 Depth=1
	v_readfirstlane_b32 s4, v35
	v_mov_b32_e32 v8, 0
	v_mov_b32_e32 v9, 0
	v_cmp_eq_u32_e64 s[4:5], s4, v35
	s_and_saveexec_b64 s[14:15], s[4:5]
	s_cbranch_execz .LBB0_89
; %bb.84:                               ;   in Loop: Header=BB0_28 Depth=1
	global_load_dwordx2 v[26:27], v28, s[6:7] offset:24 glc
	s_waitcnt vmcnt(0)
	buffer_wbinvl1_vol
	global_load_dwordx2 v[8:9], v28, s[6:7] offset:40
	global_load_dwordx2 v[24:25], v28, s[6:7]
	s_waitcnt vmcnt(1)
	v_and_b32_e32 v8, v8, v26
	v_and_b32_e32 v9, v9, v27
	v_mul_lo_u32 v9, v9, 24
	v_mul_hi_u32 v29, v8, 24
	v_mul_lo_u32 v8, v8, 24
	v_add_u32_e32 v9, v29, v9
	s_waitcnt vmcnt(0)
	v_add_co_u32_e32 v8, vcc, v24, v8
	v_addc_co_u32_e32 v9, vcc, v25, v9, vcc
	global_load_dwordx2 v[24:25], v[8:9], off glc
	s_waitcnt vmcnt(0)
	global_atomic_cmpswap_x2 v[8:9], v28, v[24:27], s[6:7] offset:24 glc
	s_waitcnt vmcnt(0)
	buffer_wbinvl1_vol
	v_cmp_ne_u64_e32 vcc, v[8:9], v[26:27]
	s_and_saveexec_b64 s[16:17], vcc
	s_cbranch_execz .LBB0_88
; %bb.85:                               ;   in Loop: Header=BB0_28 Depth=1
	s_mov_b64 s[18:19], 0
.LBB0_86:                               ;   Parent Loop BB0_28 Depth=1
                                        ; =>  This Inner Loop Header: Depth=2
	s_sleep 1
	global_load_dwordx2 v[24:25], v28, s[6:7] offset:40
	global_load_dwordx2 v[29:30], v28, s[6:7]
	v_mov_b32_e32 v27, v9
	v_mov_b32_e32 v26, v8
	s_waitcnt vmcnt(1)
	v_and_b32_e32 v8, v24, v26
	s_waitcnt vmcnt(0)
	v_mad_u64_u32 v[8:9], s[20:21], v8, 24, v[29:30]
	v_and_b32_e32 v24, v25, v27
	v_mad_u64_u32 v[24:25], s[20:21], v24, 24, v[9:10]
	v_mov_b32_e32 v9, v24
	global_load_dwordx2 v[24:25], v[8:9], off glc
	s_waitcnt vmcnt(0)
	global_atomic_cmpswap_x2 v[8:9], v28, v[24:27], s[6:7] offset:24 glc
	s_waitcnt vmcnt(0)
	buffer_wbinvl1_vol
	v_cmp_eq_u64_e32 vcc, v[8:9], v[26:27]
	s_or_b64 s[18:19], vcc, s[18:19]
	s_andn2_b64 exec, exec, s[18:19]
	s_cbranch_execnz .LBB0_86
; %bb.87:                               ;   in Loop: Header=BB0_28 Depth=1
	s_or_b64 exec, exec, s[18:19]
.LBB0_88:                               ;   in Loop: Header=BB0_28 Depth=1
	s_or_b64 exec, exec, s[16:17]
.LBB0_89:                               ;   in Loop: Header=BB0_28 Depth=1
	s_or_b64 exec, exec, s[14:15]
	global_load_dwordx2 v[29:30], v28, s[6:7] offset:40
	global_load_dwordx4 v[24:27], v28, s[6:7]
	v_readfirstlane_b32 s14, v8
	v_readfirstlane_b32 s15, v9
	s_mov_b64 s[16:17], exec
	s_waitcnt vmcnt(1)
	v_readfirstlane_b32 s18, v29
	v_readfirstlane_b32 s19, v30
	s_and_b64 s[18:19], s[14:15], s[18:19]
	s_mul_i32 s20, s19, 24
	s_mul_hi_u32 s21, s18, 24
	s_mul_i32 s22, s18, 24
	s_add_i32 s20, s21, s20
	v_mov_b32_e32 v8, s20
	s_waitcnt vmcnt(0)
	v_add_co_u32_e32 v29, vcc, s22, v24
	v_addc_co_u32_e32 v30, vcc, v25, v8, vcc
	s_and_saveexec_b64 s[20:21], s[4:5]
	s_cbranch_execz .LBB0_91
; %bb.90:                               ;   in Loop: Header=BB0_28 Depth=1
	v_mov_b32_e32 v8, s16
	v_mov_b32_e32 v9, s17
	global_store_dwordx4 v[29:30], v[8:11], off offset:8
.LBB0_91:                               ;   in Loop: Header=BB0_28 Depth=1
	s_or_b64 exec, exec, s[20:21]
	s_lshl_b64 s[16:17], s[18:19], 12
	v_mov_b32_e32 v8, s17
	v_add_co_u32_e32 v26, vcc, s16, v26
	v_addc_co_u32_e32 v32, vcc, v27, v8, vcc
	v_cmp_gt_u64_e64 vcc, s[10:11], 56
	v_or_b32_e32 v9, v2, v31
	s_lshl_b32 s16, s12, 2
	v_cndmask_b32_e32 v2, v9, v2, vcc
	s_add_i32 s16, s16, 28
	v_or_b32_e32 v8, 0, v3
	s_and_b32 s16, s16, 0x1e0
	v_and_b32_e32 v2, 0xffffff1f, v2
	v_cndmask_b32_e32 v3, v8, v3, vcc
	v_or_b32_e32 v2, s16, v2
	v_readfirstlane_b32 s16, v26
	v_readfirstlane_b32 s17, v32
	s_nop 4
	global_store_dwordx4 v34, v[2:5], s[16:17]
	global_store_dwordx4 v34, v[12:15], s[16:17] offset:16
	global_store_dwordx4 v34, v[16:19], s[16:17] offset:32
	;; [unrolled: 1-line block ×3, first 2 shown]
	s_and_saveexec_b64 s[16:17], s[4:5]
	s_cbranch_execz .LBB0_99
; %bb.92:                               ;   in Loop: Header=BB0_28 Depth=1
	global_load_dwordx2 v[14:15], v28, s[6:7] offset:32 glc
	global_load_dwordx2 v[2:3], v28, s[6:7] offset:40
	v_mov_b32_e32 v12, s14
	v_mov_b32_e32 v13, s15
	s_waitcnt vmcnt(0)
	v_readfirstlane_b32 s18, v2
	v_readfirstlane_b32 s19, v3
	s_and_b64 s[18:19], s[18:19], s[14:15]
	s_mul_i32 s19, s19, 24
	s_mul_hi_u32 s20, s18, 24
	s_mul_i32 s18, s18, 24
	s_add_i32 s19, s20, s19
	v_mov_b32_e32 v2, s19
	v_add_co_u32_e32 v8, vcc, s18, v24
	v_addc_co_u32_e32 v9, vcc, v25, v2, vcc
	global_store_dwordx2 v[8:9], v[14:15], off
	s_waitcnt vmcnt(0)
	global_atomic_cmpswap_x2 v[4:5], v28, v[12:15], s[6:7] offset:32 glc
	s_waitcnt vmcnt(0)
	v_cmp_ne_u64_e32 vcc, v[4:5], v[14:15]
	s_and_saveexec_b64 s[18:19], vcc
	s_cbranch_execz .LBB0_95
; %bb.93:                               ;   in Loop: Header=BB0_28 Depth=1
	s_mov_b64 s[20:21], 0
.LBB0_94:                               ;   Parent Loop BB0_28 Depth=1
                                        ; =>  This Inner Loop Header: Depth=2
	s_sleep 1
	global_store_dwordx2 v[8:9], v[4:5], off
	v_mov_b32_e32 v2, s14
	v_mov_b32_e32 v3, s15
	s_waitcnt vmcnt(0)
	global_atomic_cmpswap_x2 v[2:3], v28, v[2:5], s[6:7] offset:32 glc
	s_waitcnt vmcnt(0)
	v_cmp_eq_u64_e32 vcc, v[2:3], v[4:5]
	v_mov_b32_e32 v5, v3
	s_or_b64 s[20:21], vcc, s[20:21]
	v_mov_b32_e32 v4, v2
	s_andn2_b64 exec, exec, s[20:21]
	s_cbranch_execnz .LBB0_94
.LBB0_95:                               ;   in Loop: Header=BB0_28 Depth=1
	s_or_b64 exec, exec, s[18:19]
	global_load_dwordx2 v[2:3], v28, s[6:7] offset:16
	s_mov_b64 s[20:21], exec
	v_mbcnt_lo_u32_b32 v4, s20, 0
	v_mbcnt_hi_u32_b32 v4, s21, v4
	v_cmp_eq_u32_e32 vcc, 0, v4
	s_and_saveexec_b64 s[18:19], vcc
	s_cbranch_execz .LBB0_97
; %bb.96:                               ;   in Loop: Header=BB0_28 Depth=1
	s_bcnt1_i32_b64 s20, s[20:21]
	v_mov_b32_e32 v27, s20
	s_waitcnt vmcnt(0)
	global_atomic_add_x2 v[2:3], v[27:28], off offset:8
.LBB0_97:                               ;   in Loop: Header=BB0_28 Depth=1
	s_or_b64 exec, exec, s[18:19]
	s_waitcnt vmcnt(0)
	global_load_dwordx2 v[4:5], v[2:3], off offset:16
	s_waitcnt vmcnt(0)
	v_cmp_eq_u64_e32 vcc, 0, v[4:5]
	s_cbranch_vccnz .LBB0_99
; %bb.98:                               ;   in Loop: Header=BB0_28 Depth=1
	global_load_dword v27, v[2:3], off offset:24
	s_waitcnt vmcnt(0)
	v_and_b32_e32 v2, 0xffffff, v27
	v_readfirstlane_b32 m0, v2
	global_store_dwordx2 v[4:5], v[27:28], off
	s_sendmsg sendmsg(MSG_INTERRUPT)
.LBB0_99:                               ;   in Loop: Header=BB0_28 Depth=1
	s_or_b64 exec, exec, s[16:17]
	v_add_co_u32_e32 v2, vcc, v26, v34
	v_addc_co_u32_e32 v3, vcc, 0, v32, vcc
	s_branch .LBB0_103
.LBB0_100:                              ;   in Loop: Header=BB0_103 Depth=2
	s_or_b64 exec, exec, s[16:17]
	v_readfirstlane_b32 s16, v4
	s_cmp_eq_u32 s16, 0
	s_cbranch_scc1 .LBB0_102
; %bb.101:                              ;   in Loop: Header=BB0_103 Depth=2
	s_sleep 1
	s_cbranch_execnz .LBB0_103
	s_branch .LBB0_105
.LBB0_102:                              ;   in Loop: Header=BB0_28 Depth=1
	s_branch .LBB0_105
.LBB0_103:                              ;   Parent Loop BB0_28 Depth=1
                                        ; =>  This Inner Loop Header: Depth=2
	v_mov_b32_e32 v4, 1
	s_and_saveexec_b64 s[16:17], s[4:5]
	s_cbranch_execz .LBB0_100
; %bb.104:                              ;   in Loop: Header=BB0_103 Depth=2
	global_load_dword v4, v[29:30], off offset:20 glc
	s_waitcnt vmcnt(0)
	buffer_wbinvl1_vol
	v_and_b32_e32 v4, 1, v4
	s_branch .LBB0_100
.LBB0_105:                              ;   in Loop: Header=BB0_28 Depth=1
	global_load_dwordx4 v[2:5], v[2:3], off
	s_and_saveexec_b64 s[16:17], s[4:5]
	s_cbranch_execz .LBB0_27
; %bb.106:                              ;   in Loop: Header=BB0_28 Depth=1
	global_load_dwordx2 v[4:5], v28, s[6:7] offset:40
	global_load_dwordx2 v[8:9], v28, s[6:7] offset:24 glc
	global_load_dwordx2 v[15:16], v28, s[6:7]
	v_mov_b32_e32 v13, s15
	s_waitcnt vmcnt(2)
	v_add_co_u32_e32 v14, vcc, 1, v4
	v_addc_co_u32_e32 v17, vcc, 0, v5, vcc
	v_add_co_u32_e32 v12, vcc, s14, v14
	v_addc_co_u32_e32 v13, vcc, v17, v13, vcc
	v_cmp_eq_u64_e32 vcc, 0, v[12:13]
	v_cndmask_b32_e32 v13, v13, v17, vcc
	v_cndmask_b32_e32 v12, v12, v14, vcc
	v_and_b32_e32 v5, v13, v5
	v_and_b32_e32 v4, v12, v4
	v_mul_lo_u32 v5, v5, 24
	v_mul_hi_u32 v17, v4, 24
	v_mul_lo_u32 v4, v4, 24
	s_waitcnt vmcnt(1)
	v_mov_b32_e32 v14, v8
	v_add_u32_e32 v5, v17, v5
	s_waitcnt vmcnt(0)
	v_add_co_u32_e32 v4, vcc, v15, v4
	v_addc_co_u32_e32 v5, vcc, v16, v5, vcc
	global_store_dwordx2 v[4:5], v[8:9], off
	v_mov_b32_e32 v15, v9
	s_waitcnt vmcnt(0)
	global_atomic_cmpswap_x2 v[14:15], v28, v[12:15], s[6:7] offset:24 glc
	s_waitcnt vmcnt(0)
	v_cmp_ne_u64_e32 vcc, v[14:15], v[8:9]
	s_and_b64 exec, exec, vcc
	s_cbranch_execz .LBB0_27
; %bb.107:                              ;   in Loop: Header=BB0_28 Depth=1
	s_mov_b64 s[4:5], 0
.LBB0_108:                              ;   Parent Loop BB0_28 Depth=1
                                        ; =>  This Inner Loop Header: Depth=2
	s_sleep 1
	global_store_dwordx2 v[4:5], v[14:15], off
	s_waitcnt vmcnt(0)
	global_atomic_cmpswap_x2 v[8:9], v28, v[12:15], s[6:7] offset:24 glc
	s_waitcnt vmcnt(0)
	v_cmp_eq_u64_e32 vcc, v[8:9], v[14:15]
	v_mov_b32_e32 v15, v9
	s_or_b64 s[4:5], vcc, s[4:5]
	v_mov_b32_e32 v14, v8
	s_andn2_b64 exec, exec, s[4:5]
	s_cbranch_execnz .LBB0_108
	s_branch .LBB0_27
.LBB0_109:
	s_branch .LBB0_137
.LBB0_110:
                                        ; implicit-def: $vgpr2_vgpr3
	s_cbranch_execz .LBB0_137
; %bb.111:
	v_readfirstlane_b32 s4, v35
	v_mov_b32_e32 v9, 0
	v_mov_b32_e32 v10, 0
	v_cmp_eq_u32_e64 s[4:5], s4, v35
	s_and_saveexec_b64 s[8:9], s[4:5]
	s_cbranch_execz .LBB0_117
; %bb.112:
	s_waitcnt vmcnt(0)
	v_mov_b32_e32 v2, 0
	global_load_dwordx2 v[11:12], v2, s[6:7] offset:24 glc
	s_waitcnt vmcnt(0)
	buffer_wbinvl1_vol
	global_load_dwordx2 v[3:4], v2, s[6:7] offset:40
	global_load_dwordx2 v[8:9], v2, s[6:7]
	s_waitcnt vmcnt(1)
	v_and_b32_e32 v3, v3, v11
	v_and_b32_e32 v4, v4, v12
	v_mul_lo_u32 v4, v4, 24
	v_mul_hi_u32 v5, v3, 24
	v_mul_lo_u32 v3, v3, 24
	v_add_u32_e32 v4, v5, v4
	s_waitcnt vmcnt(0)
	v_add_co_u32_e32 v3, vcc, v8, v3
	v_addc_co_u32_e32 v4, vcc, v9, v4, vcc
	global_load_dwordx2 v[9:10], v[3:4], off glc
	s_waitcnt vmcnt(0)
	global_atomic_cmpswap_x2 v[9:10], v2, v[9:12], s[6:7] offset:24 glc
	s_waitcnt vmcnt(0)
	buffer_wbinvl1_vol
	v_cmp_ne_u64_e32 vcc, v[9:10], v[11:12]
	s_and_saveexec_b64 s[10:11], vcc
	s_cbranch_execz .LBB0_116
; %bb.113:
	s_mov_b64 s[12:13], 0
.LBB0_114:                              ; =>This Inner Loop Header: Depth=1
	s_sleep 1
	global_load_dwordx2 v[3:4], v2, s[6:7] offset:40
	global_load_dwordx2 v[13:14], v2, s[6:7]
	v_mov_b32_e32 v12, v10
	v_mov_b32_e32 v11, v9
	s_waitcnt vmcnt(1)
	v_and_b32_e32 v3, v3, v11
	s_waitcnt vmcnt(0)
	v_mad_u64_u32 v[8:9], s[14:15], v3, 24, v[13:14]
	v_and_b32_e32 v4, v4, v12
	v_mov_b32_e32 v3, v9
	v_mad_u64_u32 v[3:4], s[14:15], v4, 24, v[3:4]
	v_mov_b32_e32 v9, v3
	global_load_dwordx2 v[9:10], v[8:9], off glc
	s_waitcnt vmcnt(0)
	global_atomic_cmpswap_x2 v[9:10], v2, v[9:12], s[6:7] offset:24 glc
	s_waitcnt vmcnt(0)
	buffer_wbinvl1_vol
	v_cmp_eq_u64_e32 vcc, v[9:10], v[11:12]
	s_or_b64 s[12:13], vcc, s[12:13]
	s_andn2_b64 exec, exec, s[12:13]
	s_cbranch_execnz .LBB0_114
; %bb.115:
	s_or_b64 exec, exec, s[12:13]
.LBB0_116:
	s_or_b64 exec, exec, s[10:11]
.LBB0_117:
	s_or_b64 exec, exec, s[8:9]
	v_mov_b32_e32 v8, 0
	global_load_dwordx2 v[11:12], v8, s[6:7] offset:40
	global_load_dwordx4 v[2:5], v8, s[6:7]
	v_readfirstlane_b32 s8, v9
	v_readfirstlane_b32 s9, v10
	s_mov_b64 s[10:11], exec
	s_waitcnt vmcnt(1)
	v_readfirstlane_b32 s12, v11
	v_readfirstlane_b32 s13, v12
	s_and_b64 s[12:13], s[8:9], s[12:13]
	s_mul_i32 s14, s13, 24
	s_mul_hi_u32 s15, s12, 24
	s_mul_i32 s16, s12, 24
	s_add_i32 s14, s15, s14
	v_mov_b32_e32 v9, s14
	s_waitcnt vmcnt(0)
	v_add_co_u32_e32 v10, vcc, s16, v2
	v_addc_co_u32_e32 v11, vcc, v3, v9, vcc
	s_and_saveexec_b64 s[14:15], s[4:5]
	s_cbranch_execz .LBB0_119
; %bb.118:
	v_mov_b32_e32 v13, s11
	v_mov_b32_e32 v12, s10
	;; [unrolled: 1-line block ×4, first 2 shown]
	global_store_dwordx4 v[10:11], v[12:15], off offset:8
.LBB0_119:
	s_or_b64 exec, exec, s[14:15]
	s_lshl_b64 s[10:11], s[12:13], 12
	v_mov_b32_e32 v9, s11
	v_add_co_u32_e32 v4, vcc, s10, v4
	v_addc_co_u32_e32 v5, vcc, v5, v9, vcc
	s_movk_i32 s10, 0xff1f
	v_and_or_b32 v6, v6, s10, 32
	v_add_co_u32_e32 v12, vcc, v4, v34
	s_mov_b32 s12, 0
	v_mov_b32_e32 v9, v8
	v_readfirstlane_b32 s10, v4
	v_readfirstlane_b32 s11, v5
	v_addc_co_u32_e32 v13, vcc, 0, v5, vcc
	s_mov_b32 s13, s12
	s_mov_b32 s14, s12
	;; [unrolled: 1-line block ×3, first 2 shown]
	s_nop 0
	global_store_dwordx4 v34, v[6:9], s[10:11]
	v_mov_b32_e32 v4, s12
	v_mov_b32_e32 v5, s13
	v_mov_b32_e32 v6, s14
	v_mov_b32_e32 v7, s15
	global_store_dwordx4 v34, v[4:7], s[10:11] offset:16
	global_store_dwordx4 v34, v[4:7], s[10:11] offset:32
	;; [unrolled: 1-line block ×3, first 2 shown]
	s_and_saveexec_b64 s[10:11], s[4:5]
	s_cbranch_execz .LBB0_127
; %bb.120:
	v_mov_b32_e32 v8, 0
	global_load_dwordx2 v[16:17], v8, s[6:7] offset:32 glc
	global_load_dwordx2 v[4:5], v8, s[6:7] offset:40
	v_mov_b32_e32 v14, s8
	v_mov_b32_e32 v15, s9
	s_waitcnt vmcnt(0)
	v_readfirstlane_b32 s12, v4
	v_readfirstlane_b32 s13, v5
	s_and_b64 s[12:13], s[12:13], s[8:9]
	s_mul_i32 s13, s13, 24
	s_mul_hi_u32 s14, s12, 24
	s_mul_i32 s12, s12, 24
	s_add_i32 s13, s14, s13
	v_mov_b32_e32 v4, s13
	v_add_co_u32_e32 v6, vcc, s12, v2
	v_addc_co_u32_e32 v7, vcc, v3, v4, vcc
	global_store_dwordx2 v[6:7], v[16:17], off
	s_waitcnt vmcnt(0)
	global_atomic_cmpswap_x2 v[4:5], v8, v[14:17], s[6:7] offset:32 glc
	s_waitcnt vmcnt(0)
	v_cmp_ne_u64_e32 vcc, v[4:5], v[16:17]
	s_and_saveexec_b64 s[12:13], vcc
	s_cbranch_execz .LBB0_123
; %bb.121:
	s_mov_b64 s[14:15], 0
.LBB0_122:                              ; =>This Inner Loop Header: Depth=1
	s_sleep 1
	global_store_dwordx2 v[6:7], v[4:5], off
	v_mov_b32_e32 v2, s8
	v_mov_b32_e32 v3, s9
	s_waitcnt vmcnt(0)
	global_atomic_cmpswap_x2 v[2:3], v8, v[2:5], s[6:7] offset:32 glc
	s_waitcnt vmcnt(0)
	v_cmp_eq_u64_e32 vcc, v[2:3], v[4:5]
	v_mov_b32_e32 v5, v3
	s_or_b64 s[14:15], vcc, s[14:15]
	v_mov_b32_e32 v4, v2
	s_andn2_b64 exec, exec, s[14:15]
	s_cbranch_execnz .LBB0_122
.LBB0_123:
	s_or_b64 exec, exec, s[12:13]
	v_mov_b32_e32 v5, 0
	global_load_dwordx2 v[2:3], v5, s[6:7] offset:16
	s_mov_b64 s[12:13], exec
	v_mbcnt_lo_u32_b32 v4, s12, 0
	v_mbcnt_hi_u32_b32 v4, s13, v4
	v_cmp_eq_u32_e32 vcc, 0, v4
	s_and_saveexec_b64 s[14:15], vcc
	s_cbranch_execz .LBB0_125
; %bb.124:
	s_bcnt1_i32_b64 s12, s[12:13]
	v_mov_b32_e32 v4, s12
	s_waitcnt vmcnt(0)
	global_atomic_add_x2 v[2:3], v[4:5], off offset:8
.LBB0_125:
	s_or_b64 exec, exec, s[14:15]
	s_waitcnt vmcnt(0)
	global_load_dwordx2 v[4:5], v[2:3], off offset:16
	s_waitcnt vmcnt(0)
	v_cmp_eq_u64_e32 vcc, 0, v[4:5]
	s_cbranch_vccnz .LBB0_127
; %bb.126:
	global_load_dword v2, v[2:3], off offset:24
	v_mov_b32_e32 v3, 0
	s_waitcnt vmcnt(0)
	global_store_dwordx2 v[4:5], v[2:3], off
	v_and_b32_e32 v2, 0xffffff, v2
	v_readfirstlane_b32 m0, v2
	s_sendmsg sendmsg(MSG_INTERRUPT)
.LBB0_127:
	s_or_b64 exec, exec, s[10:11]
	s_branch .LBB0_131
.LBB0_128:                              ;   in Loop: Header=BB0_131 Depth=1
	s_or_b64 exec, exec, s[10:11]
	v_readfirstlane_b32 s10, v2
	s_cmp_eq_u32 s10, 0
	s_cbranch_scc1 .LBB0_130
; %bb.129:                              ;   in Loop: Header=BB0_131 Depth=1
	s_sleep 1
	s_cbranch_execnz .LBB0_131
	s_branch .LBB0_133
.LBB0_130:
	s_branch .LBB0_133
.LBB0_131:                              ; =>This Inner Loop Header: Depth=1
	v_mov_b32_e32 v2, 1
	s_and_saveexec_b64 s[10:11], s[4:5]
	s_cbranch_execz .LBB0_128
; %bb.132:                              ;   in Loop: Header=BB0_131 Depth=1
	global_load_dword v2, v[10:11], off offset:20 glc
	s_waitcnt vmcnt(0)
	buffer_wbinvl1_vol
	v_and_b32_e32 v2, 1, v2
	s_branch .LBB0_128
.LBB0_133:
	global_load_dwordx2 v[2:3], v[12:13], off
	s_and_saveexec_b64 s[10:11], s[4:5]
	s_cbranch_execz .LBB0_136
; %bb.134:
	v_mov_b32_e32 v10, 0
	global_load_dwordx2 v[6:7], v10, s[6:7] offset:40
	global_load_dwordx2 v[11:12], v10, s[6:7] offset:24 glc
	global_load_dwordx2 v[8:9], v10, s[6:7]
	v_mov_b32_e32 v5, s9
	s_mov_b64 s[4:5], 0
	s_waitcnt vmcnt(2)
	v_add_co_u32_e32 v13, vcc, 1, v6
	v_addc_co_u32_e32 v14, vcc, 0, v7, vcc
	v_add_co_u32_e32 v4, vcc, s8, v13
	v_addc_co_u32_e32 v5, vcc, v14, v5, vcc
	v_cmp_eq_u64_e32 vcc, 0, v[4:5]
	v_cndmask_b32_e32 v5, v5, v14, vcc
	v_cndmask_b32_e32 v4, v4, v13, vcc
	v_and_b32_e32 v7, v5, v7
	v_and_b32_e32 v6, v4, v6
	v_mul_lo_u32 v7, v7, 24
	v_mul_hi_u32 v13, v6, 24
	v_mul_lo_u32 v14, v6, 24
	s_waitcnt vmcnt(1)
	v_mov_b32_e32 v6, v11
	v_add_u32_e32 v7, v13, v7
	s_waitcnt vmcnt(0)
	v_add_co_u32_e32 v8, vcc, v8, v14
	v_addc_co_u32_e32 v9, vcc, v9, v7, vcc
	global_store_dwordx2 v[8:9], v[11:12], off
	v_mov_b32_e32 v7, v12
	s_waitcnt vmcnt(0)
	global_atomic_cmpswap_x2 v[6:7], v10, v[4:7], s[6:7] offset:24 glc
	s_waitcnt vmcnt(0)
	v_cmp_ne_u64_e32 vcc, v[6:7], v[11:12]
	s_and_b64 exec, exec, vcc
	s_cbranch_execz .LBB0_136
.LBB0_135:                              ; =>This Inner Loop Header: Depth=1
	s_sleep 1
	global_store_dwordx2 v[8:9], v[6:7], off
	s_waitcnt vmcnt(0)
	global_atomic_cmpswap_x2 v[11:12], v10, v[4:7], s[6:7] offset:24 glc
	s_waitcnt vmcnt(0)
	v_cmp_eq_u64_e32 vcc, v[11:12], v[6:7]
	v_mov_b32_e32 v6, v11
	s_or_b64 s[4:5], vcc, s[4:5]
	v_mov_b32_e32 v7, v12
	s_andn2_b64 exec, exec, s[4:5]
	s_cbranch_execnz .LBB0_135
.LBB0_136:
	s_or_b64 exec, exec, s[10:11]
.LBB0_137:
	v_cmp_ne_u64_e32 vcc, 0, v[0:1]
	v_mov_b32_e32 v26, 0
	v_mov_b32_e32 v27, 0
	s_mov_b64 s[10:11], 0
	s_and_saveexec_b64 s[8:9], vcc
	s_cbranch_execnz .LBB0_162
; %bb.138:
	s_or_b64 exec, exec, s[8:9]
	s_and_saveexec_b64 s[4:5], vcc
	s_xor_b64 s[8:9], exec, s[4:5]
	s_cbranch_execnz .LBB0_165
.LBB0_139:
	s_andn2_saveexec_b64 s[8:9], s[8:9]
	s_cbranch_execz .LBB0_254
.LBB0_140:
	v_readfirstlane_b32 s4, v35
	v_mov_b32_e32 v0, 0
	v_mov_b32_e32 v1, 0
	v_cmp_eq_u32_e64 s[4:5], s4, v35
	s_and_saveexec_b64 s[10:11], s[4:5]
	s_cbranch_execz .LBB0_146
; %bb.141:
	s_waitcnt vmcnt(0)
	v_mov_b32_e32 v4, 0
	global_load_dwordx2 v[7:8], v4, s[6:7] offset:24 glc
	s_waitcnt vmcnt(0)
	buffer_wbinvl1_vol
	global_load_dwordx2 v[0:1], v4, s[6:7] offset:40
	global_load_dwordx2 v[5:6], v4, s[6:7]
	s_waitcnt vmcnt(1)
	v_and_b32_e32 v0, v0, v7
	v_and_b32_e32 v1, v1, v8
	v_mul_lo_u32 v1, v1, 24
	v_mul_hi_u32 v9, v0, 24
	v_mul_lo_u32 v0, v0, 24
	v_add_u32_e32 v1, v9, v1
	s_waitcnt vmcnt(0)
	v_add_co_u32_e32 v0, vcc, v5, v0
	v_addc_co_u32_e32 v1, vcc, v6, v1, vcc
	global_load_dwordx2 v[5:6], v[0:1], off glc
	s_waitcnt vmcnt(0)
	global_atomic_cmpswap_x2 v[0:1], v4, v[5:8], s[6:7] offset:24 glc
	s_waitcnt vmcnt(0)
	buffer_wbinvl1_vol
	v_cmp_ne_u64_e32 vcc, v[0:1], v[7:8]
	s_and_saveexec_b64 s[12:13], vcc
	s_cbranch_execz .LBB0_145
; %bb.142:
	s_mov_b64 s[14:15], 0
.LBB0_143:                              ; =>This Inner Loop Header: Depth=1
	s_sleep 1
	global_load_dwordx2 v[5:6], v4, s[6:7] offset:40
	global_load_dwordx2 v[9:10], v4, s[6:7]
	v_mov_b32_e32 v8, v1
	v_mov_b32_e32 v7, v0
	s_waitcnt vmcnt(1)
	v_and_b32_e32 v0, v5, v7
	s_waitcnt vmcnt(0)
	v_mad_u64_u32 v[0:1], s[16:17], v0, 24, v[9:10]
	v_and_b32_e32 v5, v6, v8
	v_mad_u64_u32 v[5:6], s[16:17], v5, 24, v[1:2]
	v_mov_b32_e32 v1, v5
	global_load_dwordx2 v[5:6], v[0:1], off glc
	s_waitcnt vmcnt(0)
	global_atomic_cmpswap_x2 v[0:1], v4, v[5:8], s[6:7] offset:24 glc
	s_waitcnt vmcnt(0)
	buffer_wbinvl1_vol
	v_cmp_eq_u64_e32 vcc, v[0:1], v[7:8]
	s_or_b64 s[14:15], vcc, s[14:15]
	s_andn2_b64 exec, exec, s[14:15]
	s_cbranch_execnz .LBB0_143
; %bb.144:
	s_or_b64 exec, exec, s[14:15]
.LBB0_145:
	s_or_b64 exec, exec, s[12:13]
.LBB0_146:
	s_or_b64 exec, exec, s[10:11]
	s_waitcnt vmcnt(0)
	v_mov_b32_e32 v4, 0
	global_load_dwordx2 v[10:11], v4, s[6:7] offset:40
	global_load_dwordx4 v[6:9], v4, s[6:7]
	v_readfirstlane_b32 s10, v0
	v_readfirstlane_b32 s11, v1
	s_mov_b64 s[12:13], exec
	s_waitcnt vmcnt(1)
	v_readfirstlane_b32 s14, v10
	v_readfirstlane_b32 s15, v11
	s_and_b64 s[14:15], s[10:11], s[14:15]
	s_mul_i32 s16, s15, 24
	s_mul_hi_u32 s17, s14, 24
	s_mul_i32 s18, s14, 24
	s_add_i32 s16, s17, s16
	v_mov_b32_e32 v0, s16
	s_waitcnt vmcnt(0)
	v_add_co_u32_e32 v10, vcc, s18, v6
	v_addc_co_u32_e32 v11, vcc, v7, v0, vcc
	s_and_saveexec_b64 s[16:17], s[4:5]
	s_cbranch_execz .LBB0_148
; %bb.147:
	v_mov_b32_e32 v12, s12
	v_mov_b32_e32 v13, s13
	;; [unrolled: 1-line block ×4, first 2 shown]
	global_store_dwordx4 v[10:11], v[12:15], off offset:8
.LBB0_148:
	s_or_b64 exec, exec, s[16:17]
	s_lshl_b64 s[12:13], s[14:15], 12
	v_mov_b32_e32 v0, s13
	v_add_co_u32_e32 v1, vcc, s12, v8
	v_addc_co_u32_e32 v0, vcc, v9, v0, vcc
	s_movk_i32 s12, 0xff1d
	v_and_or_b32 v2, v2, s12, 34
	s_mov_b32 s12, 0
	v_mov_b32_e32 v5, v4
	v_readfirstlane_b32 s16, v1
	v_readfirstlane_b32 s17, v0
	s_mov_b32 s13, s12
	s_mov_b32 s14, s12
	;; [unrolled: 1-line block ×3, first 2 shown]
	s_nop 1
	global_store_dwordx4 v34, v[2:5], s[16:17]
	v_mov_b32_e32 v0, s12
	v_mov_b32_e32 v1, s13
	;; [unrolled: 1-line block ×4, first 2 shown]
	global_store_dwordx4 v34, v[0:3], s[16:17] offset:16
	global_store_dwordx4 v34, v[0:3], s[16:17] offset:32
	;; [unrolled: 1-line block ×3, first 2 shown]
	s_and_saveexec_b64 s[12:13], s[4:5]
	s_cbranch_execz .LBB0_156
; %bb.149:
	v_mov_b32_e32 v8, 0
	global_load_dwordx2 v[14:15], v8, s[6:7] offset:32 glc
	global_load_dwordx2 v[0:1], v8, s[6:7] offset:40
	v_mov_b32_e32 v12, s10
	v_mov_b32_e32 v13, s11
	s_waitcnt vmcnt(0)
	v_readfirstlane_b32 s14, v0
	v_readfirstlane_b32 s15, v1
	s_and_b64 s[14:15], s[14:15], s[10:11]
	s_mul_i32 s15, s15, 24
	s_mul_hi_u32 s16, s14, 24
	s_mul_i32 s14, s14, 24
	s_add_i32 s15, s16, s15
	v_mov_b32_e32 v0, s15
	v_add_co_u32_e32 v4, vcc, s14, v6
	v_addc_co_u32_e32 v5, vcc, v7, v0, vcc
	global_store_dwordx2 v[4:5], v[14:15], off
	s_waitcnt vmcnt(0)
	global_atomic_cmpswap_x2 v[2:3], v8, v[12:15], s[6:7] offset:32 glc
	s_waitcnt vmcnt(0)
	v_cmp_ne_u64_e32 vcc, v[2:3], v[14:15]
	s_and_saveexec_b64 s[14:15], vcc
	s_cbranch_execz .LBB0_152
; %bb.150:
	s_mov_b64 s[16:17], 0
.LBB0_151:                              ; =>This Inner Loop Header: Depth=1
	s_sleep 1
	global_store_dwordx2 v[4:5], v[2:3], off
	v_mov_b32_e32 v0, s10
	v_mov_b32_e32 v1, s11
	s_waitcnt vmcnt(0)
	global_atomic_cmpswap_x2 v[0:1], v8, v[0:3], s[6:7] offset:32 glc
	s_waitcnt vmcnt(0)
	v_cmp_eq_u64_e32 vcc, v[0:1], v[2:3]
	v_mov_b32_e32 v3, v1
	s_or_b64 s[16:17], vcc, s[16:17]
	v_mov_b32_e32 v2, v0
	s_andn2_b64 exec, exec, s[16:17]
	s_cbranch_execnz .LBB0_151
.LBB0_152:
	s_or_b64 exec, exec, s[14:15]
	v_mov_b32_e32 v3, 0
	global_load_dwordx2 v[0:1], v3, s[6:7] offset:16
	s_mov_b64 s[14:15], exec
	v_mbcnt_lo_u32_b32 v2, s14, 0
	v_mbcnt_hi_u32_b32 v2, s15, v2
	v_cmp_eq_u32_e32 vcc, 0, v2
	s_and_saveexec_b64 s[16:17], vcc
	s_cbranch_execz .LBB0_154
; %bb.153:
	s_bcnt1_i32_b64 s14, s[14:15]
	v_mov_b32_e32 v2, s14
	s_waitcnt vmcnt(0)
	global_atomic_add_x2 v[0:1], v[2:3], off offset:8
.LBB0_154:
	s_or_b64 exec, exec, s[16:17]
	s_waitcnt vmcnt(0)
	global_load_dwordx2 v[2:3], v[0:1], off offset:16
	s_waitcnt vmcnt(0)
	v_cmp_eq_u64_e32 vcc, 0, v[2:3]
	s_cbranch_vccnz .LBB0_156
; %bb.155:
	global_load_dword v0, v[0:1], off offset:24
	v_mov_b32_e32 v1, 0
	s_waitcnt vmcnt(0)
	global_store_dwordx2 v[2:3], v[0:1], off
	v_and_b32_e32 v0, 0xffffff, v0
	v_readfirstlane_b32 m0, v0
	s_sendmsg sendmsg(MSG_INTERRUPT)
.LBB0_156:
	s_or_b64 exec, exec, s[12:13]
	s_branch .LBB0_160
.LBB0_157:                              ;   in Loop: Header=BB0_160 Depth=1
	s_or_b64 exec, exec, s[12:13]
	v_readfirstlane_b32 s12, v0
	s_cmp_eq_u32 s12, 0
	s_cbranch_scc1 .LBB0_159
; %bb.158:                              ;   in Loop: Header=BB0_160 Depth=1
	s_sleep 1
	s_cbranch_execnz .LBB0_160
	s_branch .LBB0_249
.LBB0_159:
	s_branch .LBB0_249
.LBB0_160:                              ; =>This Inner Loop Header: Depth=1
	v_mov_b32_e32 v0, 1
	s_and_saveexec_b64 s[12:13], s[4:5]
	s_cbranch_execz .LBB0_157
; %bb.161:                              ;   in Loop: Header=BB0_160 Depth=1
	global_load_dword v0, v[10:11], off offset:20 glc
	s_waitcnt vmcnt(0)
	buffer_wbinvl1_vol
	v_and_b32_e32 v0, 1, v0
	s_branch .LBB0_157
.LBB0_162:
	s_waitcnt vmcnt(0)
	v_add_co_u32_e64 v4, s[4:5], -1, v0
	v_addc_co_u32_e64 v5, s[4:5], -1, v1, s[4:5]
.LBB0_163:                              ; =>This Inner Loop Header: Depth=1
	flat_load_ubyte v8, v[4:5] offset:1
	v_add_co_u32_e64 v6, s[4:5], 1, v4
	v_addc_co_u32_e64 v7, s[4:5], 0, v5, s[4:5]
	v_mov_b32_e32 v4, v6
	v_mov_b32_e32 v5, v7
	s_waitcnt vmcnt(0) lgkmcnt(0)
	v_cmp_eq_u16_e64 s[4:5], 0, v8
	s_or_b64 s[10:11], s[4:5], s[10:11]
	s_andn2_b64 exec, exec, s[10:11]
	s_cbranch_execnz .LBB0_163
; %bb.164:
	s_or_b64 exec, exec, s[10:11]
	v_sub_co_u32_e64 v4, s[4:5], v6, v0
	v_subb_co_u32_e64 v5, s[4:5], v7, v1, s[4:5]
	v_add_co_u32_e64 v26, s[4:5], 1, v4
	v_addc_co_u32_e64 v27, s[4:5], 0, v5, s[4:5]
	s_or_b64 exec, exec, s[8:9]
	s_and_saveexec_b64 s[4:5], vcc
	s_xor_b64 s[8:9], exec, s[4:5]
	s_cbranch_execz .LBB0_139
.LBB0_165:
	s_waitcnt vmcnt(0)
	v_and_b32_e32 v2, -3, v2
	s_mov_b64 s[10:11], 0
	s_mov_b32 s20, 0
	v_mov_b32_e32 v29, 0
	s_movk_i32 s21, 0xff1f
	v_mov_b32_e32 v8, 2
	v_mov_b32_e32 v9, 1
	s_branch .LBB0_167
.LBB0_166:                              ;   in Loop: Header=BB0_167 Depth=1
	s_or_b64 exec, exec, s[14:15]
	v_sub_co_u32_e32 v26, vcc, v26, v30
	v_subb_co_u32_e32 v27, vcc, v27, v31, vcc
	v_cmp_eq_u64_e32 vcc, 0, v[26:27]
	s_or_b64 s[10:11], vcc, s[10:11]
	v_add_co_u32_e32 v0, vcc, v0, v30
	v_addc_co_u32_e32 v1, vcc, v1, v31, vcc
	s_andn2_b64 exec, exec, s[10:11]
	s_cbranch_execz .LBB0_253
.LBB0_167:                              ; =>This Loop Header: Depth=1
                                        ;     Child Loop BB0_170 Depth 2
                                        ;     Child Loop BB0_178 Depth 2
	;; [unrolled: 1-line block ×11, first 2 shown]
	v_cmp_gt_u64_e32 vcc, 56, v[26:27]
	v_cmp_gt_u64_e64 s[4:5], 8, v[26:27]
	v_cndmask_b32_e32 v31, 0, v27, vcc
	v_cndmask_b32_e32 v30, 56, v26, vcc
                                        ; implicit-def: $sgpr12
	s_and_saveexec_b64 s[14:15], s[4:5]
	s_xor_b64 s[4:5], exec, s[14:15]
	s_cbranch_execz .LBB0_173
; %bb.168:                              ;   in Loop: Header=BB0_167 Depth=1
	v_cmp_ne_u64_e32 vcc, 0, v[26:27]
	s_waitcnt vmcnt(0)
	v_mov_b32_e32 v4, 0
	v_mov_b32_e32 v5, 0
	s_mov_b64 s[14:15], 0
	s_and_saveexec_b64 s[12:13], vcc
	s_cbranch_execz .LBB0_172
; %bb.169:                              ;   in Loop: Header=BB0_167 Depth=1
	v_lshlrev_b64 v[6:7], 3, v[30:31]
	v_mov_b32_e32 v4, 0
	v_mov_b32_e32 v11, v1
	;; [unrolled: 1-line block ×4, first 2 shown]
	s_mov_b64 s[16:17], 0
.LBB0_170:                              ;   Parent Loop BB0_167 Depth=1
                                        ; =>  This Inner Loop Header: Depth=2
	flat_load_ubyte v7, v[10:11]
	v_mov_b32_e32 v13, s20
	v_add_co_u32_e32 v10, vcc, 1, v10
	v_addc_co_u32_e32 v11, vcc, 0, v11, vcc
	s_waitcnt vmcnt(0) lgkmcnt(0)
	v_and_b32_e32 v12, 0xffff, v7
	v_lshlrev_b64 v[12:13], s16, v[12:13]
	s_add_u32 s16, s16, 8
	s_addc_u32 s17, s17, 0
	v_cmp_eq_u32_e32 vcc, s16, v6
	v_or_b32_e32 v5, v13, v5
	s_or_b64 s[14:15], vcc, s[14:15]
	v_or_b32_e32 v4, v12, v4
	s_andn2_b64 exec, exec, s[14:15]
	s_cbranch_execnz .LBB0_170
; %bb.171:                              ;   in Loop: Header=BB0_167 Depth=1
	s_or_b64 exec, exec, s[14:15]
.LBB0_172:                              ;   in Loop: Header=BB0_167 Depth=1
	s_or_b64 exec, exec, s[12:13]
	s_mov_b32 s12, 0
.LBB0_173:                              ;   in Loop: Header=BB0_167 Depth=1
	s_or_saveexec_b64 s[4:5], s[4:5]
	v_mov_b32_e32 v7, v1
	v_mov_b32_e32 v12, s12
	;; [unrolled: 1-line block ×3, first 2 shown]
	s_xor_b64 exec, exec, s[4:5]
	s_cbranch_execz .LBB0_175
; %bb.174:                              ;   in Loop: Header=BB0_167 Depth=1
	s_waitcnt vmcnt(0)
	flat_load_dwordx2 v[4:5], v[0:1]
	v_add_u32_e32 v12, -8, v30
	s_waitcnt vmcnt(0) lgkmcnt(0)
	v_and_b32_e32 v6, 0xff, v5
	v_and_b32_e32 v7, 0xff00, v5
	;; [unrolled: 1-line block ×4, first 2 shown]
	v_or_b32_e32 v6, v6, v7
	v_or3_b32 v5, v6, v10, v5
	v_add_co_u32_e32 v6, vcc, 8, v0
	v_or3_b32 v4, v4, 0, 0
	v_addc_co_u32_e32 v7, vcc, 0, v1, vcc
.LBB0_175:                              ;   in Loop: Header=BB0_167 Depth=1
	s_or_b64 exec, exec, s[4:5]
	v_cmp_gt_u32_e32 vcc, 8, v12
                                        ; implicit-def: $vgpr10_vgpr11
                                        ; implicit-def: $sgpr12
	s_and_saveexec_b64 s[4:5], vcc
	s_xor_b64 s[4:5], exec, s[4:5]
	s_cbranch_execz .LBB0_181
; %bb.176:                              ;   in Loop: Header=BB0_167 Depth=1
	v_mov_b32_e32 v10, 0
	v_mov_b32_e32 v11, 0
	v_cmp_ne_u32_e32 vcc, 0, v12
	s_and_saveexec_b64 s[12:13], vcc
	s_cbranch_execz .LBB0_180
; %bb.177:                              ;   in Loop: Header=BB0_167 Depth=1
	v_mov_b32_e32 v10, 0
	s_mov_b64 s[14:15], 0
	v_mov_b32_e32 v11, 0
	s_mov_b64 s[16:17], 0
	s_mov_b64 s[18:19], 0
.LBB0_178:                              ;   Parent Loop BB0_167 Depth=1
                                        ; =>  This Inner Loop Header: Depth=2
	v_mov_b32_e32 v14, s19
	v_add_co_u32_e32 v13, vcc, s18, v6
	v_addc_co_u32_e32 v14, vcc, v7, v14, vcc
	flat_load_ubyte v13, v[13:14]
	s_add_u32 s18, s18, 1
	v_mov_b32_e32 v14, s20
	s_addc_u32 s19, s19, 0
	v_cmp_eq_u32_e32 vcc, s18, v12
	s_waitcnt vmcnt(0) lgkmcnt(0)
	v_and_b32_e32 v13, 0xffff, v13
	v_lshlrev_b64 v[13:14], s16, v[13:14]
	s_add_u32 s16, s16, 8
	s_addc_u32 s17, s17, 0
	v_or_b32_e32 v11, v14, v11
	s_or_b64 s[14:15], vcc, s[14:15]
	v_or_b32_e32 v10, v13, v10
	s_andn2_b64 exec, exec, s[14:15]
	s_cbranch_execnz .LBB0_178
; %bb.179:                              ;   in Loop: Header=BB0_167 Depth=1
	s_or_b64 exec, exec, s[14:15]
.LBB0_180:                              ;   in Loop: Header=BB0_167 Depth=1
	s_or_b64 exec, exec, s[12:13]
	s_mov_b32 s12, 0
                                        ; implicit-def: $vgpr12
.LBB0_181:                              ;   in Loop: Header=BB0_167 Depth=1
	s_or_saveexec_b64 s[4:5], s[4:5]
	v_mov_b32_e32 v14, s12
	s_xor_b64 exec, exec, s[4:5]
	s_cbranch_execz .LBB0_183
; %bb.182:                              ;   in Loop: Header=BB0_167 Depth=1
	flat_load_dwordx2 v[10:11], v[6:7]
	v_add_u32_e32 v14, -8, v12
	v_add_co_u32_e32 v6, vcc, 8, v6
	v_addc_co_u32_e32 v7, vcc, 0, v7, vcc
	s_waitcnt vmcnt(0) lgkmcnt(0)
	v_and_b32_e32 v12, 0xff, v11
	v_and_b32_e32 v13, 0xff00, v11
	;; [unrolled: 1-line block ×4, first 2 shown]
	v_or_b32_e32 v12, v12, v13
	v_or3_b32 v10, v10, 0, 0
	v_or3_b32 v11, v12, v15, v11
.LBB0_183:                              ;   in Loop: Header=BB0_167 Depth=1
	s_or_b64 exec, exec, s[4:5]
	v_cmp_gt_u32_e32 vcc, 8, v14
                                        ; implicit-def: $sgpr12
	s_and_saveexec_b64 s[4:5], vcc
	s_xor_b64 s[4:5], exec, s[4:5]
	s_cbranch_execz .LBB0_189
; %bb.184:                              ;   in Loop: Header=BB0_167 Depth=1
	v_mov_b32_e32 v12, 0
	v_mov_b32_e32 v13, 0
	v_cmp_ne_u32_e32 vcc, 0, v14
	s_and_saveexec_b64 s[12:13], vcc
	s_cbranch_execz .LBB0_188
; %bb.185:                              ;   in Loop: Header=BB0_167 Depth=1
	v_mov_b32_e32 v12, 0
	s_mov_b64 s[14:15], 0
	v_mov_b32_e32 v13, 0
	s_mov_b64 s[16:17], 0
	s_mov_b64 s[18:19], 0
.LBB0_186:                              ;   Parent Loop BB0_167 Depth=1
                                        ; =>  This Inner Loop Header: Depth=2
	v_mov_b32_e32 v16, s19
	v_add_co_u32_e32 v15, vcc, s18, v6
	v_addc_co_u32_e32 v16, vcc, v7, v16, vcc
	flat_load_ubyte v15, v[15:16]
	s_add_u32 s18, s18, 1
	v_mov_b32_e32 v16, s20
	s_addc_u32 s19, s19, 0
	v_cmp_eq_u32_e32 vcc, s18, v14
	s_waitcnt vmcnt(0) lgkmcnt(0)
	v_and_b32_e32 v15, 0xffff, v15
	v_lshlrev_b64 v[15:16], s16, v[15:16]
	s_add_u32 s16, s16, 8
	s_addc_u32 s17, s17, 0
	v_or_b32_e32 v13, v16, v13
	s_or_b64 s[14:15], vcc, s[14:15]
	v_or_b32_e32 v12, v15, v12
	s_andn2_b64 exec, exec, s[14:15]
	s_cbranch_execnz .LBB0_186
; %bb.187:                              ;   in Loop: Header=BB0_167 Depth=1
	s_or_b64 exec, exec, s[14:15]
.LBB0_188:                              ;   in Loop: Header=BB0_167 Depth=1
	s_or_b64 exec, exec, s[12:13]
	s_mov_b32 s12, 0
                                        ; implicit-def: $vgpr14
.LBB0_189:                              ;   in Loop: Header=BB0_167 Depth=1
	s_or_saveexec_b64 s[4:5], s[4:5]
	v_mov_b32_e32 v16, s12
	s_xor_b64 exec, exec, s[4:5]
	s_cbranch_execz .LBB0_191
; %bb.190:                              ;   in Loop: Header=BB0_167 Depth=1
	flat_load_dwordx2 v[12:13], v[6:7]
	v_add_u32_e32 v16, -8, v14
	v_add_co_u32_e32 v6, vcc, 8, v6
	v_addc_co_u32_e32 v7, vcc, 0, v7, vcc
	s_waitcnt vmcnt(0) lgkmcnt(0)
	v_and_b32_e32 v14, 0xff, v13
	v_and_b32_e32 v15, 0xff00, v13
	;; [unrolled: 1-line block ×4, first 2 shown]
	v_or_b32_e32 v14, v14, v15
	v_or3_b32 v12, v12, 0, 0
	v_or3_b32 v13, v14, v17, v13
.LBB0_191:                              ;   in Loop: Header=BB0_167 Depth=1
	s_or_b64 exec, exec, s[4:5]
	v_cmp_gt_u32_e32 vcc, 8, v16
                                        ; implicit-def: $vgpr14_vgpr15
                                        ; implicit-def: $sgpr12
	s_and_saveexec_b64 s[4:5], vcc
	s_xor_b64 s[4:5], exec, s[4:5]
	s_cbranch_execz .LBB0_197
; %bb.192:                              ;   in Loop: Header=BB0_167 Depth=1
	v_mov_b32_e32 v14, 0
	v_mov_b32_e32 v15, 0
	v_cmp_ne_u32_e32 vcc, 0, v16
	s_and_saveexec_b64 s[12:13], vcc
	s_cbranch_execz .LBB0_196
; %bb.193:                              ;   in Loop: Header=BB0_167 Depth=1
	v_mov_b32_e32 v14, 0
	s_mov_b64 s[14:15], 0
	v_mov_b32_e32 v15, 0
	s_mov_b64 s[16:17], 0
	s_mov_b64 s[18:19], 0
.LBB0_194:                              ;   Parent Loop BB0_167 Depth=1
                                        ; =>  This Inner Loop Header: Depth=2
	v_mov_b32_e32 v18, s19
	v_add_co_u32_e32 v17, vcc, s18, v6
	v_addc_co_u32_e32 v18, vcc, v7, v18, vcc
	flat_load_ubyte v17, v[17:18]
	s_add_u32 s18, s18, 1
	v_mov_b32_e32 v18, s20
	s_addc_u32 s19, s19, 0
	v_cmp_eq_u32_e32 vcc, s18, v16
	s_waitcnt vmcnt(0) lgkmcnt(0)
	v_and_b32_e32 v17, 0xffff, v17
	v_lshlrev_b64 v[17:18], s16, v[17:18]
	s_add_u32 s16, s16, 8
	s_addc_u32 s17, s17, 0
	v_or_b32_e32 v15, v18, v15
	s_or_b64 s[14:15], vcc, s[14:15]
	v_or_b32_e32 v14, v17, v14
	s_andn2_b64 exec, exec, s[14:15]
	s_cbranch_execnz .LBB0_194
; %bb.195:                              ;   in Loop: Header=BB0_167 Depth=1
	s_or_b64 exec, exec, s[14:15]
.LBB0_196:                              ;   in Loop: Header=BB0_167 Depth=1
	s_or_b64 exec, exec, s[12:13]
	s_mov_b32 s12, 0
                                        ; implicit-def: $vgpr16
.LBB0_197:                              ;   in Loop: Header=BB0_167 Depth=1
	s_or_saveexec_b64 s[4:5], s[4:5]
	v_mov_b32_e32 v18, s12
	s_xor_b64 exec, exec, s[4:5]
	s_cbranch_execz .LBB0_199
; %bb.198:                              ;   in Loop: Header=BB0_167 Depth=1
	flat_load_dwordx2 v[14:15], v[6:7]
	v_add_u32_e32 v18, -8, v16
	v_add_co_u32_e32 v6, vcc, 8, v6
	v_addc_co_u32_e32 v7, vcc, 0, v7, vcc
	s_waitcnt vmcnt(0) lgkmcnt(0)
	v_and_b32_e32 v16, 0xff, v15
	v_and_b32_e32 v17, 0xff00, v15
	;; [unrolled: 1-line block ×4, first 2 shown]
	v_or_b32_e32 v16, v16, v17
	v_or3_b32 v14, v14, 0, 0
	v_or3_b32 v15, v16, v19, v15
.LBB0_199:                              ;   in Loop: Header=BB0_167 Depth=1
	s_or_b64 exec, exec, s[4:5]
	v_cmp_gt_u32_e32 vcc, 8, v18
                                        ; implicit-def: $sgpr12
	s_and_saveexec_b64 s[4:5], vcc
	s_xor_b64 s[4:5], exec, s[4:5]
	s_cbranch_execz .LBB0_205
; %bb.200:                              ;   in Loop: Header=BB0_167 Depth=1
	v_mov_b32_e32 v16, 0
	v_mov_b32_e32 v17, 0
	v_cmp_ne_u32_e32 vcc, 0, v18
	s_and_saveexec_b64 s[12:13], vcc
	s_cbranch_execz .LBB0_204
; %bb.201:                              ;   in Loop: Header=BB0_167 Depth=1
	v_mov_b32_e32 v16, 0
	s_mov_b64 s[14:15], 0
	v_mov_b32_e32 v17, 0
	s_mov_b64 s[16:17], 0
	s_mov_b64 s[18:19], 0
.LBB0_202:                              ;   Parent Loop BB0_167 Depth=1
                                        ; =>  This Inner Loop Header: Depth=2
	v_mov_b32_e32 v20, s19
	v_add_co_u32_e32 v19, vcc, s18, v6
	v_addc_co_u32_e32 v20, vcc, v7, v20, vcc
	flat_load_ubyte v19, v[19:20]
	s_add_u32 s18, s18, 1
	v_mov_b32_e32 v20, s20
	s_addc_u32 s19, s19, 0
	v_cmp_eq_u32_e32 vcc, s18, v18
	s_waitcnt vmcnt(0) lgkmcnt(0)
	v_and_b32_e32 v19, 0xffff, v19
	v_lshlrev_b64 v[19:20], s16, v[19:20]
	s_add_u32 s16, s16, 8
	s_addc_u32 s17, s17, 0
	v_or_b32_e32 v17, v20, v17
	s_or_b64 s[14:15], vcc, s[14:15]
	v_or_b32_e32 v16, v19, v16
	s_andn2_b64 exec, exec, s[14:15]
	s_cbranch_execnz .LBB0_202
; %bb.203:                              ;   in Loop: Header=BB0_167 Depth=1
	s_or_b64 exec, exec, s[14:15]
.LBB0_204:                              ;   in Loop: Header=BB0_167 Depth=1
	s_or_b64 exec, exec, s[12:13]
	s_mov_b32 s12, 0
                                        ; implicit-def: $vgpr18
.LBB0_205:                              ;   in Loop: Header=BB0_167 Depth=1
	s_or_saveexec_b64 s[4:5], s[4:5]
	v_mov_b32_e32 v20, s12
	s_xor_b64 exec, exec, s[4:5]
	s_cbranch_execz .LBB0_207
; %bb.206:                              ;   in Loop: Header=BB0_167 Depth=1
	flat_load_dwordx2 v[16:17], v[6:7]
	v_add_u32_e32 v20, -8, v18
	v_add_co_u32_e32 v6, vcc, 8, v6
	v_addc_co_u32_e32 v7, vcc, 0, v7, vcc
	s_waitcnt vmcnt(0) lgkmcnt(0)
	v_and_b32_e32 v18, 0xff, v17
	v_and_b32_e32 v19, 0xff00, v17
	;; [unrolled: 1-line block ×4, first 2 shown]
	v_or_b32_e32 v18, v18, v19
	v_or3_b32 v16, v16, 0, 0
	v_or3_b32 v17, v18, v21, v17
.LBB0_207:                              ;   in Loop: Header=BB0_167 Depth=1
	s_or_b64 exec, exec, s[4:5]
	v_cmp_gt_u32_e32 vcc, 8, v20
                                        ; implicit-def: $vgpr18_vgpr19
                                        ; implicit-def: $sgpr12
	s_and_saveexec_b64 s[4:5], vcc
	s_xor_b64 s[4:5], exec, s[4:5]
	s_cbranch_execz .LBB0_213
; %bb.208:                              ;   in Loop: Header=BB0_167 Depth=1
	v_mov_b32_e32 v18, 0
	v_mov_b32_e32 v19, 0
	v_cmp_ne_u32_e32 vcc, 0, v20
	s_and_saveexec_b64 s[12:13], vcc
	s_cbranch_execz .LBB0_212
; %bb.209:                              ;   in Loop: Header=BB0_167 Depth=1
	v_mov_b32_e32 v18, 0
	s_mov_b64 s[14:15], 0
	v_mov_b32_e32 v19, 0
	s_mov_b64 s[16:17], 0
	s_mov_b64 s[18:19], 0
.LBB0_210:                              ;   Parent Loop BB0_167 Depth=1
                                        ; =>  This Inner Loop Header: Depth=2
	v_mov_b32_e32 v22, s19
	v_add_co_u32_e32 v21, vcc, s18, v6
	v_addc_co_u32_e32 v22, vcc, v7, v22, vcc
	flat_load_ubyte v21, v[21:22]
	s_add_u32 s18, s18, 1
	v_mov_b32_e32 v22, s20
	s_addc_u32 s19, s19, 0
	v_cmp_eq_u32_e32 vcc, s18, v20
	s_waitcnt vmcnt(0) lgkmcnt(0)
	v_and_b32_e32 v21, 0xffff, v21
	v_lshlrev_b64 v[21:22], s16, v[21:22]
	s_add_u32 s16, s16, 8
	s_addc_u32 s17, s17, 0
	v_or_b32_e32 v19, v22, v19
	s_or_b64 s[14:15], vcc, s[14:15]
	v_or_b32_e32 v18, v21, v18
	s_andn2_b64 exec, exec, s[14:15]
	s_cbranch_execnz .LBB0_210
; %bb.211:                              ;   in Loop: Header=BB0_167 Depth=1
	s_or_b64 exec, exec, s[14:15]
.LBB0_212:                              ;   in Loop: Header=BB0_167 Depth=1
	s_or_b64 exec, exec, s[12:13]
	s_mov_b32 s12, 0
                                        ; implicit-def: $vgpr20
.LBB0_213:                              ;   in Loop: Header=BB0_167 Depth=1
	s_or_saveexec_b64 s[4:5], s[4:5]
	v_mov_b32_e32 v22, s12
	s_xor_b64 exec, exec, s[4:5]
	s_cbranch_execz .LBB0_215
; %bb.214:                              ;   in Loop: Header=BB0_167 Depth=1
	flat_load_dwordx2 v[18:19], v[6:7]
	v_add_u32_e32 v22, -8, v20
	v_add_co_u32_e32 v6, vcc, 8, v6
	v_addc_co_u32_e32 v7, vcc, 0, v7, vcc
	s_waitcnt vmcnt(0) lgkmcnt(0)
	v_and_b32_e32 v20, 0xff, v19
	v_and_b32_e32 v21, 0xff00, v19
	v_and_b32_e32 v23, 0xff0000, v19
	v_and_b32_e32 v19, 0xff000000, v19
	v_or_b32_e32 v20, v20, v21
	v_or3_b32 v18, v18, 0, 0
	v_or3_b32 v19, v20, v23, v19
.LBB0_215:                              ;   in Loop: Header=BB0_167 Depth=1
	s_or_b64 exec, exec, s[4:5]
	v_cmp_gt_u32_e32 vcc, 8, v22
	s_and_saveexec_b64 s[4:5], vcc
	s_xor_b64 s[4:5], exec, s[4:5]
	s_cbranch_execz .LBB0_221
; %bb.216:                              ;   in Loop: Header=BB0_167 Depth=1
	v_mov_b32_e32 v20, 0
	v_mov_b32_e32 v21, 0
	v_cmp_ne_u32_e32 vcc, 0, v22
	s_and_saveexec_b64 s[12:13], vcc
	s_cbranch_execz .LBB0_220
; %bb.217:                              ;   in Loop: Header=BB0_167 Depth=1
	v_mov_b32_e32 v20, 0
	s_mov_b64 s[14:15], 0
	v_mov_b32_e32 v21, 0
	s_mov_b64 s[16:17], 0
.LBB0_218:                              ;   Parent Loop BB0_167 Depth=1
                                        ; =>  This Inner Loop Header: Depth=2
	flat_load_ubyte v23, v[6:7]
	v_mov_b32_e32 v24, s20
	v_add_co_u32_e32 v6, vcc, 1, v6
	v_add_u32_e32 v22, -1, v22
	v_addc_co_u32_e32 v7, vcc, 0, v7, vcc
	v_cmp_eq_u32_e32 vcc, 0, v22
	s_waitcnt vmcnt(0) lgkmcnt(0)
	v_and_b32_e32 v23, 0xffff, v23
	v_lshlrev_b64 v[23:24], s16, v[23:24]
	s_add_u32 s16, s16, 8
	s_addc_u32 s17, s17, 0
	v_or_b32_e32 v21, v24, v21
	s_or_b64 s[14:15], vcc, s[14:15]
	v_or_b32_e32 v20, v23, v20
	s_andn2_b64 exec, exec, s[14:15]
	s_cbranch_execnz .LBB0_218
; %bb.219:                              ;   in Loop: Header=BB0_167 Depth=1
	s_or_b64 exec, exec, s[14:15]
.LBB0_220:                              ;   in Loop: Header=BB0_167 Depth=1
	s_or_b64 exec, exec, s[12:13]
                                        ; implicit-def: $vgpr6_vgpr7
.LBB0_221:                              ;   in Loop: Header=BB0_167 Depth=1
	s_andn2_saveexec_b64 s[4:5], s[4:5]
	s_cbranch_execz .LBB0_223
; %bb.222:                              ;   in Loop: Header=BB0_167 Depth=1
	flat_load_dwordx2 v[6:7], v[6:7]
	s_waitcnt vmcnt(0) lgkmcnt(0)
	v_and_b32_e32 v20, 0xff, v7
	v_and_b32_e32 v21, 0xff00, v7
	;; [unrolled: 1-line block ×4, first 2 shown]
	v_or_b32_e32 v20, v20, v21
	v_or3_b32 v21, v20, v22, v7
	v_or3_b32 v20, v6, 0, 0
.LBB0_223:                              ;   in Loop: Header=BB0_167 Depth=1
	s_or_b64 exec, exec, s[4:5]
	v_readfirstlane_b32 s4, v35
	v_mov_b32_e32 v6, 0
	v_mov_b32_e32 v7, 0
	v_cmp_eq_u32_e64 s[4:5], s4, v35
	s_and_saveexec_b64 s[12:13], s[4:5]
	s_cbranch_execz .LBB0_229
; %bb.224:                              ;   in Loop: Header=BB0_167 Depth=1
	global_load_dwordx2 v[24:25], v29, s[6:7] offset:24 glc
	s_waitcnt vmcnt(0)
	buffer_wbinvl1_vol
	global_load_dwordx2 v[6:7], v29, s[6:7] offset:40
	global_load_dwordx2 v[22:23], v29, s[6:7]
	s_waitcnt vmcnt(1)
	v_and_b32_e32 v6, v6, v24
	v_and_b32_e32 v7, v7, v25
	v_mul_lo_u32 v7, v7, 24
	v_mul_hi_u32 v28, v6, 24
	v_mul_lo_u32 v6, v6, 24
	v_add_u32_e32 v7, v28, v7
	s_waitcnt vmcnt(0)
	v_add_co_u32_e32 v6, vcc, v22, v6
	v_addc_co_u32_e32 v7, vcc, v23, v7, vcc
	global_load_dwordx2 v[22:23], v[6:7], off glc
	s_waitcnt vmcnt(0)
	global_atomic_cmpswap_x2 v[6:7], v29, v[22:25], s[6:7] offset:24 glc
	s_waitcnt vmcnt(0)
	buffer_wbinvl1_vol
	v_cmp_ne_u64_e32 vcc, v[6:7], v[24:25]
	s_and_saveexec_b64 s[14:15], vcc
	s_cbranch_execz .LBB0_228
; %bb.225:                              ;   in Loop: Header=BB0_167 Depth=1
	s_mov_b64 s[16:17], 0
.LBB0_226:                              ;   Parent Loop BB0_167 Depth=1
                                        ; =>  This Inner Loop Header: Depth=2
	s_sleep 1
	global_load_dwordx2 v[22:23], v29, s[6:7] offset:40
	global_load_dwordx2 v[32:33], v29, s[6:7]
	v_mov_b32_e32 v25, v7
	v_mov_b32_e32 v24, v6
	s_waitcnt vmcnt(1)
	v_and_b32_e32 v6, v22, v24
	s_waitcnt vmcnt(0)
	v_mad_u64_u32 v[6:7], s[18:19], v6, 24, v[32:33]
	v_and_b32_e32 v22, v23, v25
	v_mad_u64_u32 v[22:23], s[18:19], v22, 24, v[7:8]
	v_mov_b32_e32 v7, v22
	global_load_dwordx2 v[22:23], v[6:7], off glc
	s_waitcnt vmcnt(0)
	global_atomic_cmpswap_x2 v[6:7], v29, v[22:25], s[6:7] offset:24 glc
	s_waitcnt vmcnt(0)
	buffer_wbinvl1_vol
	v_cmp_eq_u64_e32 vcc, v[6:7], v[24:25]
	s_or_b64 s[16:17], vcc, s[16:17]
	s_andn2_b64 exec, exec, s[16:17]
	s_cbranch_execnz .LBB0_226
; %bb.227:                              ;   in Loop: Header=BB0_167 Depth=1
	s_or_b64 exec, exec, s[16:17]
.LBB0_228:                              ;   in Loop: Header=BB0_167 Depth=1
	s_or_b64 exec, exec, s[14:15]
.LBB0_229:                              ;   in Loop: Header=BB0_167 Depth=1
	s_or_b64 exec, exec, s[12:13]
	global_load_dwordx2 v[32:33], v29, s[6:7] offset:40
	global_load_dwordx4 v[22:25], v29, s[6:7]
	v_readfirstlane_b32 s12, v6
	v_readfirstlane_b32 s13, v7
	s_mov_b64 s[14:15], exec
	s_waitcnt vmcnt(1)
	v_readfirstlane_b32 s16, v32
	v_readfirstlane_b32 s17, v33
	s_and_b64 s[16:17], s[12:13], s[16:17]
	s_mul_i32 s18, s17, 24
	s_mul_hi_u32 s19, s16, 24
	s_mul_i32 s22, s16, 24
	s_add_i32 s18, s19, s18
	v_mov_b32_e32 v6, s18
	s_waitcnt vmcnt(0)
	v_add_co_u32_e32 v32, vcc, s22, v22
	v_addc_co_u32_e32 v33, vcc, v23, v6, vcc
	s_and_saveexec_b64 s[18:19], s[4:5]
	s_cbranch_execz .LBB0_231
; %bb.230:                              ;   in Loop: Header=BB0_167 Depth=1
	v_mov_b32_e32 v6, s14
	v_mov_b32_e32 v7, s15
	global_store_dwordx4 v[32:33], v[6:9], off offset:8
.LBB0_231:                              ;   in Loop: Header=BB0_167 Depth=1
	s_or_b64 exec, exec, s[18:19]
	s_lshl_b64 s[14:15], s[16:17], 12
	v_mov_b32_e32 v6, s15
	v_add_co_u32_e32 v24, vcc, s14, v24
	v_addc_co_u32_e32 v25, vcc, v25, v6, vcc
	v_cmp_lt_u64_e32 vcc, 56, v[26:27]
	v_or_b32_e32 v6, 2, v2
	v_cndmask_b32_e32 v2, v6, v2, vcc
	v_lshl_add_u32 v6, v30, 2, 28
	v_and_b32_e32 v6, 0x1e0, v6
	v_and_or_b32 v2, v2, s21, v6
	v_readfirstlane_b32 s14, v24
	v_readfirstlane_b32 s15, v25
	s_nop 4
	global_store_dwordx4 v34, v[2:5], s[14:15]
	global_store_dwordx4 v34, v[10:13], s[14:15] offset:16
	global_store_dwordx4 v34, v[14:17], s[14:15] offset:32
	;; [unrolled: 1-line block ×3, first 2 shown]
	s_and_saveexec_b64 s[14:15], s[4:5]
	s_cbranch_execz .LBB0_239
; %bb.232:                              ;   in Loop: Header=BB0_167 Depth=1
	global_load_dwordx2 v[12:13], v29, s[6:7] offset:32 glc
	global_load_dwordx2 v[2:3], v29, s[6:7] offset:40
	v_mov_b32_e32 v10, s12
	v_mov_b32_e32 v11, s13
	s_waitcnt vmcnt(0)
	v_readfirstlane_b32 s16, v2
	v_readfirstlane_b32 s17, v3
	s_and_b64 s[16:17], s[16:17], s[12:13]
	s_mul_i32 s17, s17, 24
	s_mul_hi_u32 s18, s16, 24
	s_mul_i32 s16, s16, 24
	s_add_i32 s17, s18, s17
	v_mov_b32_e32 v2, s17
	v_add_co_u32_e32 v6, vcc, s16, v22
	v_addc_co_u32_e32 v7, vcc, v23, v2, vcc
	global_store_dwordx2 v[6:7], v[12:13], off
	s_waitcnt vmcnt(0)
	global_atomic_cmpswap_x2 v[4:5], v29, v[10:13], s[6:7] offset:32 glc
	s_waitcnt vmcnt(0)
	v_cmp_ne_u64_e32 vcc, v[4:5], v[12:13]
	s_and_saveexec_b64 s[16:17], vcc
	s_cbranch_execz .LBB0_235
; %bb.233:                              ;   in Loop: Header=BB0_167 Depth=1
	s_mov_b64 s[18:19], 0
.LBB0_234:                              ;   Parent Loop BB0_167 Depth=1
                                        ; =>  This Inner Loop Header: Depth=2
	s_sleep 1
	global_store_dwordx2 v[6:7], v[4:5], off
	v_mov_b32_e32 v2, s12
	v_mov_b32_e32 v3, s13
	s_waitcnt vmcnt(0)
	global_atomic_cmpswap_x2 v[2:3], v29, v[2:5], s[6:7] offset:32 glc
	s_waitcnt vmcnt(0)
	v_cmp_eq_u64_e32 vcc, v[2:3], v[4:5]
	v_mov_b32_e32 v5, v3
	s_or_b64 s[18:19], vcc, s[18:19]
	v_mov_b32_e32 v4, v2
	s_andn2_b64 exec, exec, s[18:19]
	s_cbranch_execnz .LBB0_234
.LBB0_235:                              ;   in Loop: Header=BB0_167 Depth=1
	s_or_b64 exec, exec, s[16:17]
	global_load_dwordx2 v[2:3], v29, s[6:7] offset:16
	s_mov_b64 s[18:19], exec
	v_mbcnt_lo_u32_b32 v4, s18, 0
	v_mbcnt_hi_u32_b32 v4, s19, v4
	v_cmp_eq_u32_e32 vcc, 0, v4
	s_and_saveexec_b64 s[16:17], vcc
	s_cbranch_execz .LBB0_237
; %bb.236:                              ;   in Loop: Header=BB0_167 Depth=1
	s_bcnt1_i32_b64 s18, s[18:19]
	v_mov_b32_e32 v28, s18
	s_waitcnt vmcnt(0)
	global_atomic_add_x2 v[2:3], v[28:29], off offset:8
.LBB0_237:                              ;   in Loop: Header=BB0_167 Depth=1
	s_or_b64 exec, exec, s[16:17]
	s_waitcnt vmcnt(0)
	global_load_dwordx2 v[4:5], v[2:3], off offset:16
	s_waitcnt vmcnt(0)
	v_cmp_eq_u64_e32 vcc, 0, v[4:5]
	s_cbranch_vccnz .LBB0_239
; %bb.238:                              ;   in Loop: Header=BB0_167 Depth=1
	global_load_dword v28, v[2:3], off offset:24
	s_waitcnt vmcnt(0)
	v_and_b32_e32 v2, 0xffffff, v28
	v_readfirstlane_b32 m0, v2
	global_store_dwordx2 v[4:5], v[28:29], off
	s_sendmsg sendmsg(MSG_INTERRUPT)
.LBB0_239:                              ;   in Loop: Header=BB0_167 Depth=1
	s_or_b64 exec, exec, s[14:15]
	v_add_co_u32_e32 v2, vcc, v24, v34
	v_addc_co_u32_e32 v3, vcc, 0, v25, vcc
	s_branch .LBB0_243
.LBB0_240:                              ;   in Loop: Header=BB0_243 Depth=2
	s_or_b64 exec, exec, s[14:15]
	v_readfirstlane_b32 s14, v4
	s_cmp_eq_u32 s14, 0
	s_cbranch_scc1 .LBB0_242
; %bb.241:                              ;   in Loop: Header=BB0_243 Depth=2
	s_sleep 1
	s_cbranch_execnz .LBB0_243
	s_branch .LBB0_245
.LBB0_242:                              ;   in Loop: Header=BB0_167 Depth=1
	s_branch .LBB0_245
.LBB0_243:                              ;   Parent Loop BB0_167 Depth=1
                                        ; =>  This Inner Loop Header: Depth=2
	v_mov_b32_e32 v4, 1
	s_and_saveexec_b64 s[14:15], s[4:5]
	s_cbranch_execz .LBB0_240
; %bb.244:                              ;   in Loop: Header=BB0_243 Depth=2
	global_load_dword v4, v[32:33], off offset:20 glc
	s_waitcnt vmcnt(0)
	buffer_wbinvl1_vol
	v_and_b32_e32 v4, 1, v4
	s_branch .LBB0_240
.LBB0_245:                              ;   in Loop: Header=BB0_167 Depth=1
	global_load_dwordx4 v[2:5], v[2:3], off
	s_and_saveexec_b64 s[14:15], s[4:5]
	s_cbranch_execz .LBB0_166
; %bb.246:                              ;   in Loop: Header=BB0_167 Depth=1
	global_load_dwordx2 v[6:7], v29, s[6:7] offset:40
	global_load_dwordx2 v[12:13], v29, s[6:7] offset:24 glc
	global_load_dwordx2 v[10:11], v29, s[6:7]
	s_waitcnt vmcnt(3)
	v_mov_b32_e32 v5, s13
	s_waitcnt vmcnt(2)
	v_add_co_u32_e32 v14, vcc, 1, v6
	v_addc_co_u32_e32 v15, vcc, 0, v7, vcc
	v_add_co_u32_e32 v4, vcc, s12, v14
	v_addc_co_u32_e32 v5, vcc, v15, v5, vcc
	v_cmp_eq_u64_e32 vcc, 0, v[4:5]
	v_cndmask_b32_e32 v5, v5, v15, vcc
	v_cndmask_b32_e32 v4, v4, v14, vcc
	v_and_b32_e32 v7, v5, v7
	v_and_b32_e32 v6, v4, v6
	v_mul_lo_u32 v7, v7, 24
	v_mul_hi_u32 v14, v6, 24
	v_mul_lo_u32 v15, v6, 24
	s_waitcnt vmcnt(1)
	v_mov_b32_e32 v6, v12
	v_add_u32_e32 v7, v14, v7
	s_waitcnt vmcnt(0)
	v_add_co_u32_e32 v10, vcc, v10, v15
	v_addc_co_u32_e32 v11, vcc, v11, v7, vcc
	global_store_dwordx2 v[10:11], v[12:13], off
	v_mov_b32_e32 v7, v13
	s_waitcnt vmcnt(0)
	global_atomic_cmpswap_x2 v[6:7], v29, v[4:7], s[6:7] offset:24 glc
	s_waitcnt vmcnt(0)
	v_cmp_ne_u64_e32 vcc, v[6:7], v[12:13]
	s_and_b64 exec, exec, vcc
	s_cbranch_execz .LBB0_166
; %bb.247:                              ;   in Loop: Header=BB0_167 Depth=1
	s_mov_b64 s[4:5], 0
.LBB0_248:                              ;   Parent Loop BB0_167 Depth=1
                                        ; =>  This Inner Loop Header: Depth=2
	s_sleep 1
	global_store_dwordx2 v[10:11], v[6:7], off
	s_waitcnt vmcnt(0)
	global_atomic_cmpswap_x2 v[12:13], v29, v[4:7], s[6:7] offset:24 glc
	s_waitcnt vmcnt(0)
	v_cmp_eq_u64_e32 vcc, v[12:13], v[6:7]
	v_mov_b32_e32 v6, v12
	s_or_b64 s[4:5], vcc, s[4:5]
	v_mov_b32_e32 v7, v13
	s_andn2_b64 exec, exec, s[4:5]
	s_cbranch_execnz .LBB0_248
	s_branch .LBB0_166
.LBB0_249:
	s_and_saveexec_b64 s[12:13], s[4:5]
	s_cbranch_execz .LBB0_252
; %bb.250:
	v_mov_b32_e32 v6, 0
	global_load_dwordx2 v[2:3], v6, s[6:7] offset:40
	global_load_dwordx2 v[7:8], v6, s[6:7] offset:24 glc
	global_load_dwordx2 v[4:5], v6, s[6:7]
	v_mov_b32_e32 v1, s11
	s_mov_b64 s[4:5], 0
	s_waitcnt vmcnt(2)
	v_add_co_u32_e32 v9, vcc, 1, v2
	v_addc_co_u32_e32 v10, vcc, 0, v3, vcc
	v_add_co_u32_e32 v0, vcc, s10, v9
	v_addc_co_u32_e32 v1, vcc, v10, v1, vcc
	v_cmp_eq_u64_e32 vcc, 0, v[0:1]
	v_cndmask_b32_e32 v1, v1, v10, vcc
	v_cndmask_b32_e32 v0, v0, v9, vcc
	v_and_b32_e32 v3, v1, v3
	v_and_b32_e32 v2, v0, v2
	v_mul_lo_u32 v3, v3, 24
	v_mul_hi_u32 v9, v2, 24
	v_mul_lo_u32 v10, v2, 24
	s_waitcnt vmcnt(1)
	v_mov_b32_e32 v2, v7
	v_add_u32_e32 v3, v9, v3
	s_waitcnt vmcnt(0)
	v_add_co_u32_e32 v4, vcc, v4, v10
	v_addc_co_u32_e32 v5, vcc, v5, v3, vcc
	global_store_dwordx2 v[4:5], v[7:8], off
	v_mov_b32_e32 v3, v8
	s_waitcnt vmcnt(0)
	global_atomic_cmpswap_x2 v[2:3], v6, v[0:3], s[6:7] offset:24 glc
	s_waitcnt vmcnt(0)
	v_cmp_ne_u64_e32 vcc, v[2:3], v[7:8]
	s_and_b64 exec, exec, vcc
	s_cbranch_execz .LBB0_252
.LBB0_251:                              ; =>This Inner Loop Header: Depth=1
	s_sleep 1
	global_store_dwordx2 v[4:5], v[2:3], off
	s_waitcnt vmcnt(0)
	global_atomic_cmpswap_x2 v[7:8], v6, v[0:3], s[6:7] offset:24 glc
	s_waitcnt vmcnt(0)
	v_cmp_eq_u64_e32 vcc, v[7:8], v[2:3]
	v_mov_b32_e32 v2, v7
	s_or_b64 s[4:5], vcc, s[4:5]
	v_mov_b32_e32 v3, v8
	s_andn2_b64 exec, exec, s[4:5]
	s_cbranch_execnz .LBB0_251
.LBB0_252:
	s_or_b64 exec, exec, s[12:13]
	s_or_b64 exec, exec, s[8:9]
	s_waitcnt vmcnt(0) lgkmcnt(0)
	s_setpc_b64 s[30:31]
.LBB0_253:
	s_or_b64 exec, exec, s[10:11]
                                        ; implicit-def: $vgpr2_vgpr3
                                        ; implicit-def: $vgpr34
                                        ; implicit-def: $vgpr35
	s_andn2_saveexec_b64 s[8:9], s[8:9]
	s_cbranch_execnz .LBB0_140
.LBB0_254:
	s_or_b64 exec, exec, s[8:9]
	s_waitcnt vmcnt(0) lgkmcnt(0)
	s_setpc_b64 s[30:31]
.Lfunc_end0:
	.size	_ZNK8migraphx13basic_printerIZNS_4coutEvEUlT_E_ElsEPKc, .Lfunc_end0-_ZNK8migraphx13basic_printerIZNS_4coutEvEUlT_E_ElsEPKc
                                        ; -- End function
	.section	.AMDGPU.csdata,"",@progbits
; Function info:
; codeLenInByte = 8900
; NumSgprs: 36
; NumVgprs: 36
; ScratchSize: 0
; MemoryBound: 0
	.text
	.p2align	2                               ; -- Begin function _ZN8migraphx4testlsIKNS_13basic_printerIZNS_4coutEvEUlT_E_EEEERS3_S7_RKNS0_10expressionINS0_14lhs_expressionIRNS_5arrayIiLj4EEENS0_3nopEEESC_NS0_5equalEEE
	.type	_ZN8migraphx4testlsIKNS_13basic_printerIZNS_4coutEvEUlT_E_EEEERS3_S7_RKNS0_10expressionINS0_14lhs_expressionIRNS_5arrayIiLj4EEENS0_3nopEEESC_NS0_5equalEEE,@function
_ZN8migraphx4testlsIKNS_13basic_printerIZNS_4coutEvEUlT_E_EEEERS3_S7_RKNS0_10expressionINS0_14lhs_expressionIRNS_5arrayIiLj4EEENS0_3nopEEESC_NS0_5equalEEE: ; @_ZN8migraphx4testlsIKNS_13basic_printerIZNS_4coutEvEUlT_E_EEEERS3_S7_RKNS0_10expressionINS0_14lhs_expressionIRNS_5arrayIiLj4EEENS0_3nopEEESC_NS0_5equalEEE
; %bb.0:
	s_waitcnt vmcnt(0) expcnt(0) lgkmcnt(0)
	s_mov_b32 s4, s33
	s_mov_b32 s33, s32
	s_or_saveexec_b64 s[6:7], -1
	buffer_store_dword v41, off, s[0:3], s33 ; 4-byte Folded Spill
	s_mov_b64 exec, s[6:7]
	v_writelane_b32 v41, s4, 2
	v_writelane_b32 v41, s30, 0
	s_addk_i32 s32, 0x400
	v_writelane_b32 v41, s31, 1
	v_mov_b32_e32 v37, v1
	v_mov_b32_e32 v36, v0
	flat_load_dwordx2 v[38:39], v[36:37]
	s_getpc_b64 s[4:5]
	s_add_u32 s4, s4, .str.7@rel32@lo+4
	s_addc_u32 s5, s5, .str.7@rel32@hi+12
	s_mov_b32 s35, 0
	s_cmp_lg_u64 s[4:5], 0
	v_mbcnt_lo_u32_b32 v0, -1, 0
	s_mov_b64 s[24:25], s[8:9]
	s_cselect_b64 s[26:27], -1, 0
	v_mbcnt_hi_u32_b32 v55, -1, v0
	v_mov_b32_e32 v50, 0
	s_mov_b32 s36, s35
	s_mov_b32 s37, s35
	s_mov_b32 s38, s35
	s_mov_b32 s39, s35
	s_movk_i32 s23, 0xff1f
	s_movk_i32 s40, 0xff1d
	v_mov_b32_e32 v53, 2
	v_mov_b32_e32 v54, 1
	;; [unrolled: 1-line block ×3, first 2 shown]
	s_mov_b32 s34, s35
	s_branch .LBB1_2
.LBB1_1:                                ;   in Loop: Header=BB1_2 Depth=1
	s_or_b64 exec, exec, s[8:9]
	s_add_i32 s34, s34, 1
	s_cmp_lg_u32 s34, 4
	s_cbranch_scc0 .LBB1_169
.LBB1_2:                                ; =>This Loop Header: Depth=1
                                        ;     Child Loop BB1_7 Depth 2
                                        ;     Child Loop BB1_15 Depth 2
                                        ;     Child Loop BB1_24 Depth 2
                                        ;     Child Loop BB1_29 Depth 2
                                        ;     Child Loop BB1_119 Depth 2
                                        ;     Child Loop BB1_127 Depth 2
                                        ;     Child Loop BB1_136 Depth 2
                                        ;     Child Loop BB1_141 Depth 2
                                        ;     Child Loop BB1_33 Depth 2
                                        ;       Child Loop BB1_36 Depth 3
                                        ;       Child Loop BB1_43 Depth 3
	;; [unrolled: 1-line block ×11, first 2 shown]
                                        ;     Child Loop BB1_146 Depth 2
                                        ;     Child Loop BB1_154 Depth 2
	;; [unrolled: 1-line block ×4, first 2 shown]
	s_cmp_eq_u32 s34, 0
	s_cbranch_scc1 .LBB1_4
; %bb.3:                                ;   in Loop: Header=BB1_2 Depth=1
	s_getpc_b64 s[4:5]
	s_add_u32 s4, s4, .str.11@rel32@lo+4
	s_addc_u32 s5, s5, .str.11@rel32@hi+12
	s_mov_b64 s[8:9], s[24:25]
	v_mov_b32_e32 v0, s4
	v_mov_b32_e32 v1, s5
	s_getpc_b64 s[6:7]
	s_add_u32 s6, s6, _ZNK8migraphx13basic_printerIZNS_4coutEvEUlT_E_ElsEPKc@rel32@lo+4
	s_addc_u32 s7, s7, _ZNK8migraphx13basic_printerIZNS_4coutEvEUlT_E_ElsEPKc@rel32@hi+12
	s_swappc_b64 s[30:31], s[6:7]
.LBB1_4:                                ;   in Loop: Header=BB1_2 Depth=1
	s_lshl_b64 s[4:5], s[34:35], 2
	v_mov_b32_e32 v1, s5
	s_waitcnt vmcnt(0) lgkmcnt(0)
	v_add_co_u32_e32 v0, vcc, s4, v38
	v_addc_co_u32_e32 v1, vcc, v39, v1, vcc
	flat_load_dword v24, v[0:1]
	s_load_dwordx2 s[28:29], s[24:25], 0x50
	v_readfirstlane_b32 s4, v55
	v_mov_b32_e32 v4, 0
	v_mov_b32_e32 v5, 0
	v_cmp_eq_u32_e64 s[4:5], s4, v55
	s_and_saveexec_b64 s[6:7], s[4:5]
	s_cbranch_execz .LBB1_10
; %bb.5:                                ;   in Loop: Header=BB1_2 Depth=1
	s_waitcnt lgkmcnt(0)
	global_load_dwordx2 v[2:3], v50, s[28:29] offset:24 glc
	s_waitcnt vmcnt(0)
	buffer_wbinvl1_vol
	global_load_dwordx2 v[0:1], v50, s[28:29] offset:40
	global_load_dwordx2 v[4:5], v50, s[28:29]
	s_waitcnt vmcnt(1)
	v_and_b32_e32 v0, v0, v2
	v_and_b32_e32 v1, v1, v3
	v_mul_lo_u32 v1, v1, 24
	v_mul_hi_u32 v6, v0, 24
	v_mul_lo_u32 v0, v0, 24
	v_add_u32_e32 v1, v6, v1
	s_waitcnt vmcnt(0)
	v_add_co_u32_e32 v0, vcc, v4, v0
	v_addc_co_u32_e32 v1, vcc, v5, v1, vcc
	global_load_dwordx2 v[0:1], v[0:1], off glc
	s_waitcnt vmcnt(0)
	global_atomic_cmpswap_x2 v[4:5], v50, v[0:3], s[28:29] offset:24 glc
	s_waitcnt vmcnt(0)
	buffer_wbinvl1_vol
	v_cmp_ne_u64_e32 vcc, v[4:5], v[2:3]
	s_and_saveexec_b64 s[8:9], vcc
	s_cbranch_execz .LBB1_9
; %bb.6:                                ;   in Loop: Header=BB1_2 Depth=1
	s_mov_b64 s[10:11], 0
.LBB1_7:                                ;   Parent Loop BB1_2 Depth=1
                                        ; =>  This Inner Loop Header: Depth=2
	s_sleep 1
	global_load_dwordx2 v[0:1], v50, s[28:29] offset:40
	global_load_dwordx2 v[6:7], v50, s[28:29]
	v_mov_b32_e32 v2, v4
	v_mov_b32_e32 v3, v5
	s_waitcnt vmcnt(1)
	v_and_b32_e32 v0, v0, v2
	s_waitcnt vmcnt(0)
	v_mad_u64_u32 v[4:5], s[12:13], v0, 24, v[6:7]
	v_and_b32_e32 v1, v1, v3
	v_mov_b32_e32 v0, v5
	v_mad_u64_u32 v[0:1], s[12:13], v1, 24, v[0:1]
	v_mov_b32_e32 v5, v0
	global_load_dwordx2 v[0:1], v[4:5], off glc
	s_waitcnt vmcnt(0)
	global_atomic_cmpswap_x2 v[4:5], v50, v[0:3], s[28:29] offset:24 glc
	s_waitcnt vmcnt(0)
	buffer_wbinvl1_vol
	v_cmp_eq_u64_e32 vcc, v[4:5], v[2:3]
	s_or_b64 s[10:11], vcc, s[10:11]
	s_andn2_b64 exec, exec, s[10:11]
	s_cbranch_execnz .LBB1_7
; %bb.8:                                ;   in Loop: Header=BB1_2 Depth=1
	s_or_b64 exec, exec, s[10:11]
.LBB1_9:                                ;   in Loop: Header=BB1_2 Depth=1
	s_or_b64 exec, exec, s[8:9]
.LBB1_10:                               ;   in Loop: Header=BB1_2 Depth=1
	s_or_b64 exec, exec, s[6:7]
	s_waitcnt lgkmcnt(0)
	global_load_dwordx2 v[6:7], v50, s[28:29] offset:40
	global_load_dwordx4 v[0:3], v50, s[28:29]
	v_readfirstlane_b32 s6, v4
	v_readfirstlane_b32 s7, v5
	s_mov_b64 s[8:9], exec
	s_waitcnt vmcnt(0)
	v_readfirstlane_b32 s10, v6
	v_readfirstlane_b32 s11, v7
	s_and_b64 s[10:11], s[6:7], s[10:11]
	s_mul_i32 s12, s11, 24
	s_mul_hi_u32 s13, s10, 24
	s_mul_i32 s14, s10, 24
	s_add_i32 s12, s13, s12
	v_mov_b32_e32 v5, s12
	v_add_co_u32_e32 v4, vcc, s14, v0
	v_addc_co_u32_e32 v5, vcc, v1, v5, vcc
	s_and_saveexec_b64 s[12:13], s[4:5]
	s_cbranch_execz .LBB1_12
; %bb.11:                               ;   in Loop: Header=BB1_2 Depth=1
	v_mov_b32_e32 v52, s9
	v_mov_b32_e32 v51, s8
	global_store_dwordx4 v[4:5], v[51:54], off offset:8
.LBB1_12:                               ;   in Loop: Header=BB1_2 Depth=1
	s_or_b64 exec, exec, s[12:13]
	s_lshl_b64 s[8:9], s[10:11], 12
	v_mov_b32_e32 v6, s9
	v_add_co_u32_e32 v8, vcc, s8, v2
	v_addc_co_u32_e32 v9, vcc, v3, v6, vcc
	v_mov_b32_e32 v10, s36
	v_lshlrev_b32_e32 v40, 6, v55
	v_mov_b32_e32 v49, v50
	v_mov_b32_e32 v51, v50
	v_readfirstlane_b32 s8, v8
	v_readfirstlane_b32 s9, v9
	v_mov_b32_e32 v11, s37
	v_mov_b32_e32 v12, s38
	;; [unrolled: 1-line block ×3, first 2 shown]
	s_nop 1
	global_store_dwordx4 v40, v[48:51], s[8:9]
	global_store_dwordx4 v40, v[10:13], s[8:9] offset:16
	global_store_dwordx4 v40, v[10:13], s[8:9] offset:32
	;; [unrolled: 1-line block ×3, first 2 shown]
	s_and_saveexec_b64 s[8:9], s[4:5]
	s_cbranch_execz .LBB1_20
; %bb.13:                               ;   in Loop: Header=BB1_2 Depth=1
	global_load_dwordx2 v[12:13], v50, s[28:29] offset:32 glc
	global_load_dwordx2 v[2:3], v50, s[28:29] offset:40
	v_mov_b32_e32 v10, s6
	v_mov_b32_e32 v11, s7
	s_waitcnt vmcnt(0)
	v_and_b32_e32 v2, s6, v2
	v_and_b32_e32 v3, s7, v3
	v_mul_lo_u32 v3, v3, 24
	v_mul_hi_u32 v6, v2, 24
	v_mul_lo_u32 v2, v2, 24
	v_add_u32_e32 v3, v6, v3
	v_add_co_u32_e32 v6, vcc, v0, v2
	v_addc_co_u32_e32 v7, vcc, v1, v3, vcc
	global_store_dwordx2 v[6:7], v[12:13], off
	s_waitcnt vmcnt(0)
	global_atomic_cmpswap_x2 v[2:3], v50, v[10:13], s[28:29] offset:32 glc
	s_waitcnt vmcnt(0)
	v_cmp_ne_u64_e32 vcc, v[2:3], v[12:13]
	s_and_saveexec_b64 s[10:11], vcc
	s_cbranch_execz .LBB1_16
; %bb.14:                               ;   in Loop: Header=BB1_2 Depth=1
	s_mov_b64 s[12:13], 0
.LBB1_15:                               ;   Parent Loop BB1_2 Depth=1
                                        ; =>  This Inner Loop Header: Depth=2
	s_sleep 1
	global_store_dwordx2 v[6:7], v[2:3], off
	v_mov_b32_e32 v0, s6
	v_mov_b32_e32 v1, s7
	s_waitcnt vmcnt(0)
	global_atomic_cmpswap_x2 v[0:1], v50, v[0:3], s[28:29] offset:32 glc
	s_waitcnt vmcnt(0)
	v_cmp_eq_u64_e32 vcc, v[0:1], v[2:3]
	v_mov_b32_e32 v3, v1
	s_or_b64 s[12:13], vcc, s[12:13]
	v_mov_b32_e32 v2, v0
	s_andn2_b64 exec, exec, s[12:13]
	s_cbranch_execnz .LBB1_15
.LBB1_16:                               ;   in Loop: Header=BB1_2 Depth=1
	s_or_b64 exec, exec, s[10:11]
	global_load_dwordx2 v[0:1], v50, s[28:29] offset:16
	s_mov_b64 s[12:13], exec
	v_mbcnt_lo_u32_b32 v2, s12, 0
	v_mbcnt_hi_u32_b32 v2, s13, v2
	v_cmp_eq_u32_e32 vcc, 0, v2
	s_and_saveexec_b64 s[10:11], vcc
	s_cbranch_execz .LBB1_18
; %bb.17:                               ;   in Loop: Header=BB1_2 Depth=1
	s_bcnt1_i32_b64 s12, s[12:13]
	v_mov_b32_e32 v49, s12
	s_waitcnt vmcnt(0)
	global_atomic_add_x2 v[0:1], v[49:50], off offset:8
.LBB1_18:                               ;   in Loop: Header=BB1_2 Depth=1
	s_or_b64 exec, exec, s[10:11]
	s_waitcnt vmcnt(0)
	global_load_dwordx2 v[2:3], v[0:1], off offset:16
	s_waitcnt vmcnt(0)
	v_cmp_eq_u64_e32 vcc, 0, v[2:3]
	s_cbranch_vccnz .LBB1_20
; %bb.19:                               ;   in Loop: Header=BB1_2 Depth=1
	global_load_dword v49, v[0:1], off offset:24
	s_waitcnt vmcnt(0)
	v_and_b32_e32 v0, 0xffffff, v49
	v_readfirstlane_b32 m0, v0
	global_store_dwordx2 v[2:3], v[49:50], off
	s_sendmsg sendmsg(MSG_INTERRUPT)
.LBB1_20:                               ;   in Loop: Header=BB1_2 Depth=1
	s_or_b64 exec, exec, s[8:9]
	v_add_co_u32_e32 v0, vcc, v8, v40
	v_addc_co_u32_e32 v1, vcc, 0, v9, vcc
	s_branch .LBB1_24
.LBB1_21:                               ;   in Loop: Header=BB1_24 Depth=2
	s_or_b64 exec, exec, s[8:9]
	v_readfirstlane_b32 s8, v2
	s_cmp_eq_u32 s8, 0
	s_cbranch_scc1 .LBB1_23
; %bb.22:                               ;   in Loop: Header=BB1_24 Depth=2
	s_sleep 1
	s_cbranch_execnz .LBB1_24
	s_branch .LBB1_26
.LBB1_23:                               ;   in Loop: Header=BB1_2 Depth=1
	s_branch .LBB1_26
.LBB1_24:                               ;   Parent Loop BB1_2 Depth=1
                                        ; =>  This Inner Loop Header: Depth=2
	v_mov_b32_e32 v2, 1
	s_and_saveexec_b64 s[8:9], s[4:5]
	s_cbranch_execz .LBB1_21
; %bb.25:                               ;   in Loop: Header=BB1_24 Depth=2
	global_load_dword v2, v[4:5], off offset:20 glc
	s_waitcnt vmcnt(0)
	buffer_wbinvl1_vol
	v_and_b32_e32 v2, 1, v2
	s_branch .LBB1_21
.LBB1_26:                               ;   in Loop: Header=BB1_2 Depth=1
	global_load_dwordx2 v[0:1], v[0:1], off
	s_and_saveexec_b64 s[8:9], s[4:5]
	s_cbranch_execz .LBB1_30
; %bb.27:                               ;   in Loop: Header=BB1_2 Depth=1
	global_load_dwordx2 v[4:5], v50, s[28:29] offset:40
	global_load_dwordx2 v[8:9], v50, s[28:29] offset:24 glc
	global_load_dwordx2 v[6:7], v50, s[28:29]
	v_mov_b32_e32 v3, s7
	s_waitcnt vmcnt(2)
	v_add_co_u32_e32 v10, vcc, 1, v4
	v_addc_co_u32_e32 v11, vcc, 0, v5, vcc
	v_add_co_u32_e32 v2, vcc, s6, v10
	v_addc_co_u32_e32 v3, vcc, v11, v3, vcc
	v_cmp_eq_u64_e32 vcc, 0, v[2:3]
	v_cndmask_b32_e32 v3, v3, v11, vcc
	v_cndmask_b32_e32 v2, v2, v10, vcc
	v_and_b32_e32 v5, v3, v5
	v_and_b32_e32 v4, v2, v4
	v_mul_lo_u32 v5, v5, 24
	v_mul_hi_u32 v10, v4, 24
	v_mul_lo_u32 v11, v4, 24
	s_waitcnt vmcnt(1)
	v_mov_b32_e32 v4, v8
	v_add_u32_e32 v5, v10, v5
	s_waitcnt vmcnt(0)
	v_add_co_u32_e32 v6, vcc, v6, v11
	v_addc_co_u32_e32 v7, vcc, v7, v5, vcc
	global_store_dwordx2 v[6:7], v[8:9], off
	v_mov_b32_e32 v5, v9
	s_waitcnt vmcnt(0)
	global_atomic_cmpswap_x2 v[4:5], v50, v[2:5], s[28:29] offset:24 glc
	s_waitcnt vmcnt(0)
	v_cmp_ne_u64_e32 vcc, v[4:5], v[8:9]
	s_and_b64 exec, exec, vcc
	s_cbranch_execz .LBB1_30
; %bb.28:                               ;   in Loop: Header=BB1_2 Depth=1
	s_mov_b64 s[4:5], 0
.LBB1_29:                               ;   Parent Loop BB1_2 Depth=1
                                        ; =>  This Inner Loop Header: Depth=2
	s_sleep 1
	global_store_dwordx2 v[6:7], v[4:5], off
	s_waitcnt vmcnt(0)
	global_atomic_cmpswap_x2 v[8:9], v50, v[2:5], s[28:29] offset:24 glc
	s_waitcnt vmcnt(0)
	v_cmp_eq_u64_e32 vcc, v[8:9], v[4:5]
	v_mov_b32_e32 v4, v8
	s_or_b64 s[4:5], vcc, s[4:5]
	v_mov_b32_e32 v5, v9
	s_andn2_b64 exec, exec, s[4:5]
	s_cbranch_execnz .LBB1_29
.LBB1_30:                               ;   in Loop: Header=BB1_2 Depth=1
	s_or_b64 exec, exec, s[8:9]
	s_and_b64 vcc, exec, s[26:27]
	s_cbranch_vccz .LBB1_115
; %bb.31:                               ;   in Loop: Header=BB1_2 Depth=1
	s_waitcnt vmcnt(0)
	v_and_b32_e32 v25, 2, v0
	v_and_b32_e32 v2, -3, v0
	v_mov_b32_e32 v3, v1
	s_mov_b64 s[8:9], 4
	s_getpc_b64 s[6:7]
	s_add_u32 s6, s6, .str.7@rel32@lo+4
	s_addc_u32 s7, s7, .str.7@rel32@hi+12
	s_branch .LBB1_33
.LBB1_32:                               ;   in Loop: Header=BB1_33 Depth=2
	s_or_b64 exec, exec, s[14:15]
	s_sub_u32 s8, s8, s10
	s_subb_u32 s9, s9, s11
	s_add_u32 s6, s6, s10
	s_addc_u32 s7, s7, s11
	s_cmp_lg_u64 s[8:9], 0
	s_cbranch_scc0 .LBB1_114
.LBB1_33:                               ;   Parent Loop BB1_2 Depth=1
                                        ; =>  This Loop Header: Depth=2
                                        ;       Child Loop BB1_36 Depth 3
                                        ;       Child Loop BB1_43 Depth 3
	;; [unrolled: 1-line block ×11, first 2 shown]
	v_cmp_lt_u64_e64 s[4:5], s[8:9], 56
	v_cmp_gt_u64_e64 s[12:13], s[8:9], 7
	s_and_b64 s[4:5], s[4:5], exec
	s_cselect_b32 s11, s9, 0
	s_cselect_b32 s10, s8, 56
	s_and_b64 vcc, exec, s[12:13]
	s_cbranch_vccnz .LBB1_38
; %bb.34:                               ;   in Loop: Header=BB1_33 Depth=2
	s_waitcnt vmcnt(0)
	v_mov_b32_e32 v4, 0
	s_cmp_eq_u64 s[8:9], 0
	v_mov_b32_e32 v5, 0
	s_mov_b64 s[4:5], 0
	s_cbranch_scc1 .LBB1_37
; %bb.35:                               ;   in Loop: Header=BB1_33 Depth=2
	v_mov_b32_e32 v4, 0
	s_lshl_b64 s[12:13], s[10:11], 3
	s_mov_b64 s[14:15], 0
	v_mov_b32_e32 v5, 0
	s_mov_b64 s[16:17], s[6:7]
.LBB1_36:                               ;   Parent Loop BB1_2 Depth=1
                                        ;     Parent Loop BB1_33 Depth=2
                                        ; =>    This Inner Loop Header: Depth=3
	global_load_ubyte v6, v50, s[16:17]
	s_waitcnt vmcnt(0)
	v_and_b32_e32 v49, 0xffff, v6
	v_lshlrev_b64 v[6:7], s14, v[49:50]
	s_add_u32 s14, s14, 8
	s_addc_u32 s15, s15, 0
	s_add_u32 s16, s16, 1
	s_addc_u32 s17, s17, 0
	v_or_b32_e32 v4, v6, v4
	s_cmp_lg_u32 s12, s14
	v_or_b32_e32 v5, v7, v5
	s_cbranch_scc1 .LBB1_36
.LBB1_37:                               ;   in Loop: Header=BB1_33 Depth=2
	s_mov_b32 s16, 0
	s_andn2_b64 vcc, exec, s[4:5]
	s_mov_b64 s[4:5], s[6:7]
	s_cbranch_vccz .LBB1_39
	s_branch .LBB1_40
.LBB1_38:                               ;   in Loop: Header=BB1_33 Depth=2
                                        ; implicit-def: $vgpr4_vgpr5
                                        ; implicit-def: $sgpr16
	s_mov_b64 s[4:5], s[6:7]
.LBB1_39:                               ;   in Loop: Header=BB1_33 Depth=2
	global_load_dwordx2 v[4:5], v50, s[6:7]
	s_add_i32 s16, s10, -8
	s_add_u32 s4, s6, 8
	s_addc_u32 s5, s7, 0
.LBB1_40:                               ;   in Loop: Header=BB1_33 Depth=2
	s_cmp_gt_u32 s16, 7
	s_cbranch_scc1 .LBB1_44
; %bb.41:                               ;   in Loop: Header=BB1_33 Depth=2
	s_cmp_eq_u32 s16, 0
	s_cbranch_scc1 .LBB1_45
; %bb.42:                               ;   in Loop: Header=BB1_33 Depth=2
	v_mov_b32_e32 v6, 0
	s_mov_b64 s[12:13], 0
	v_mov_b32_e32 v7, 0
	s_mov_b64 s[14:15], 0
.LBB1_43:                               ;   Parent Loop BB1_2 Depth=1
                                        ;     Parent Loop BB1_33 Depth=2
                                        ; =>    This Inner Loop Header: Depth=3
	s_add_u32 s18, s4, s14
	s_addc_u32 s19, s5, s15
	global_load_ubyte v8, v50, s[18:19]
	s_add_u32 s14, s14, 1
	s_addc_u32 s15, s15, 0
	s_waitcnt vmcnt(0)
	v_and_b32_e32 v49, 0xffff, v8
	v_lshlrev_b64 v[8:9], s12, v[49:50]
	s_add_u32 s12, s12, 8
	s_addc_u32 s13, s13, 0
	v_or_b32_e32 v6, v8, v6
	s_cmp_lg_u32 s16, s14
	v_or_b32_e32 v7, v9, v7
	s_cbranch_scc1 .LBB1_43
	s_branch .LBB1_46
.LBB1_44:                               ;   in Loop: Header=BB1_33 Depth=2
                                        ; implicit-def: $vgpr6_vgpr7
                                        ; implicit-def: $sgpr17
	s_branch .LBB1_47
.LBB1_45:                               ;   in Loop: Header=BB1_33 Depth=2
	v_mov_b32_e32 v6, 0
	v_mov_b32_e32 v7, 0
.LBB1_46:                               ;   in Loop: Header=BB1_33 Depth=2
	s_mov_b32 s17, 0
	s_cbranch_execnz .LBB1_48
.LBB1_47:                               ;   in Loop: Header=BB1_33 Depth=2
	global_load_dwordx2 v[6:7], v50, s[4:5]
	s_add_i32 s17, s16, -8
	s_add_u32 s4, s4, 8
	s_addc_u32 s5, s5, 0
.LBB1_48:                               ;   in Loop: Header=BB1_33 Depth=2
	s_cmp_gt_u32 s17, 7
	s_cbranch_scc1 .LBB1_52
; %bb.49:                               ;   in Loop: Header=BB1_33 Depth=2
	s_cmp_eq_u32 s17, 0
	s_cbranch_scc1 .LBB1_53
; %bb.50:                               ;   in Loop: Header=BB1_33 Depth=2
	v_mov_b32_e32 v8, 0
	s_mov_b64 s[12:13], 0
	v_mov_b32_e32 v9, 0
	s_mov_b64 s[14:15], 0
.LBB1_51:                               ;   Parent Loop BB1_2 Depth=1
                                        ;     Parent Loop BB1_33 Depth=2
                                        ; =>    This Inner Loop Header: Depth=3
	s_add_u32 s18, s4, s14
	s_addc_u32 s19, s5, s15
	global_load_ubyte v10, v50, s[18:19]
	s_add_u32 s14, s14, 1
	s_addc_u32 s15, s15, 0
	s_waitcnt vmcnt(0)
	v_and_b32_e32 v49, 0xffff, v10
	v_lshlrev_b64 v[10:11], s12, v[49:50]
	s_add_u32 s12, s12, 8
	s_addc_u32 s13, s13, 0
	v_or_b32_e32 v8, v10, v8
	s_cmp_lg_u32 s17, s14
	v_or_b32_e32 v9, v11, v9
	s_cbranch_scc1 .LBB1_51
	s_branch .LBB1_54
.LBB1_52:                               ;   in Loop: Header=BB1_33 Depth=2
                                        ; implicit-def: $sgpr16
	s_branch .LBB1_55
.LBB1_53:                               ;   in Loop: Header=BB1_33 Depth=2
	v_mov_b32_e32 v8, 0
	v_mov_b32_e32 v9, 0
.LBB1_54:                               ;   in Loop: Header=BB1_33 Depth=2
	s_mov_b32 s16, 0
	s_cbranch_execnz .LBB1_56
.LBB1_55:                               ;   in Loop: Header=BB1_33 Depth=2
	global_load_dwordx2 v[8:9], v50, s[4:5]
	s_add_i32 s16, s17, -8
	s_add_u32 s4, s4, 8
	s_addc_u32 s5, s5, 0
.LBB1_56:                               ;   in Loop: Header=BB1_33 Depth=2
	s_cmp_gt_u32 s16, 7
	s_cbranch_scc1 .LBB1_60
; %bb.57:                               ;   in Loop: Header=BB1_33 Depth=2
	s_cmp_eq_u32 s16, 0
	s_cbranch_scc1 .LBB1_61
; %bb.58:                               ;   in Loop: Header=BB1_33 Depth=2
	v_mov_b32_e32 v10, 0
	s_mov_b64 s[12:13], 0
	v_mov_b32_e32 v11, 0
	s_mov_b64 s[14:15], 0
.LBB1_59:                               ;   Parent Loop BB1_2 Depth=1
                                        ;     Parent Loop BB1_33 Depth=2
                                        ; =>    This Inner Loop Header: Depth=3
	s_add_u32 s18, s4, s14
	s_addc_u32 s19, s5, s15
	global_load_ubyte v12, v50, s[18:19]
	s_add_u32 s14, s14, 1
	s_addc_u32 s15, s15, 0
	s_waitcnt vmcnt(0)
	v_and_b32_e32 v49, 0xffff, v12
	v_lshlrev_b64 v[12:13], s12, v[49:50]
	s_add_u32 s12, s12, 8
	s_addc_u32 s13, s13, 0
	v_or_b32_e32 v10, v12, v10
	s_cmp_lg_u32 s16, s14
	v_or_b32_e32 v11, v13, v11
	s_cbranch_scc1 .LBB1_59
	s_branch .LBB1_62
.LBB1_60:                               ;   in Loop: Header=BB1_33 Depth=2
                                        ; implicit-def: $vgpr10_vgpr11
                                        ; implicit-def: $sgpr17
	s_branch .LBB1_63
.LBB1_61:                               ;   in Loop: Header=BB1_33 Depth=2
	v_mov_b32_e32 v10, 0
	v_mov_b32_e32 v11, 0
.LBB1_62:                               ;   in Loop: Header=BB1_33 Depth=2
	s_mov_b32 s17, 0
	s_cbranch_execnz .LBB1_64
.LBB1_63:                               ;   in Loop: Header=BB1_33 Depth=2
	global_load_dwordx2 v[10:11], v50, s[4:5]
	s_add_i32 s17, s16, -8
	s_add_u32 s4, s4, 8
	s_addc_u32 s5, s5, 0
.LBB1_64:                               ;   in Loop: Header=BB1_33 Depth=2
	s_cmp_gt_u32 s17, 7
	s_cbranch_scc1 .LBB1_68
; %bb.65:                               ;   in Loop: Header=BB1_33 Depth=2
	s_cmp_eq_u32 s17, 0
	s_cbranch_scc1 .LBB1_69
; %bb.66:                               ;   in Loop: Header=BB1_33 Depth=2
	v_mov_b32_e32 v12, 0
	s_mov_b64 s[12:13], 0
	v_mov_b32_e32 v13, 0
	s_mov_b64 s[14:15], 0
.LBB1_67:                               ;   Parent Loop BB1_2 Depth=1
                                        ;     Parent Loop BB1_33 Depth=2
                                        ; =>    This Inner Loop Header: Depth=3
	s_add_u32 s18, s4, s14
	s_addc_u32 s19, s5, s15
	global_load_ubyte v14, v50, s[18:19]
	s_add_u32 s14, s14, 1
	s_addc_u32 s15, s15, 0
	s_waitcnt vmcnt(0)
	v_and_b32_e32 v49, 0xffff, v14
	v_lshlrev_b64 v[14:15], s12, v[49:50]
	s_add_u32 s12, s12, 8
	s_addc_u32 s13, s13, 0
	v_or_b32_e32 v12, v14, v12
	s_cmp_lg_u32 s17, s14
	v_or_b32_e32 v13, v15, v13
	s_cbranch_scc1 .LBB1_67
	s_branch .LBB1_70
.LBB1_68:                               ;   in Loop: Header=BB1_33 Depth=2
                                        ; implicit-def: $sgpr16
	s_branch .LBB1_71
.LBB1_69:                               ;   in Loop: Header=BB1_33 Depth=2
	v_mov_b32_e32 v12, 0
	v_mov_b32_e32 v13, 0
.LBB1_70:                               ;   in Loop: Header=BB1_33 Depth=2
	s_mov_b32 s16, 0
	s_cbranch_execnz .LBB1_72
.LBB1_71:                               ;   in Loop: Header=BB1_33 Depth=2
	global_load_dwordx2 v[12:13], v50, s[4:5]
	s_add_i32 s16, s17, -8
	s_add_u32 s4, s4, 8
	s_addc_u32 s5, s5, 0
.LBB1_72:                               ;   in Loop: Header=BB1_33 Depth=2
	s_cmp_gt_u32 s16, 7
	s_cbranch_scc1 .LBB1_76
; %bb.73:                               ;   in Loop: Header=BB1_33 Depth=2
	s_cmp_eq_u32 s16, 0
	s_cbranch_scc1 .LBB1_77
; %bb.74:                               ;   in Loop: Header=BB1_33 Depth=2
	v_mov_b32_e32 v14, 0
	s_mov_b64 s[12:13], 0
	v_mov_b32_e32 v15, 0
	s_mov_b64 s[14:15], 0
.LBB1_75:                               ;   Parent Loop BB1_2 Depth=1
                                        ;     Parent Loop BB1_33 Depth=2
                                        ; =>    This Inner Loop Header: Depth=3
	s_add_u32 s18, s4, s14
	s_addc_u32 s19, s5, s15
	global_load_ubyte v16, v50, s[18:19]
	s_add_u32 s14, s14, 1
	s_addc_u32 s15, s15, 0
	s_waitcnt vmcnt(0)
	v_and_b32_e32 v49, 0xffff, v16
	v_lshlrev_b64 v[16:17], s12, v[49:50]
	s_add_u32 s12, s12, 8
	s_addc_u32 s13, s13, 0
	v_or_b32_e32 v14, v16, v14
	s_cmp_lg_u32 s16, s14
	v_or_b32_e32 v15, v17, v15
	s_cbranch_scc1 .LBB1_75
	s_branch .LBB1_78
.LBB1_76:                               ;   in Loop: Header=BB1_33 Depth=2
                                        ; implicit-def: $vgpr14_vgpr15
                                        ; implicit-def: $sgpr17
	s_branch .LBB1_79
.LBB1_77:                               ;   in Loop: Header=BB1_33 Depth=2
	v_mov_b32_e32 v14, 0
	v_mov_b32_e32 v15, 0
.LBB1_78:                               ;   in Loop: Header=BB1_33 Depth=2
	s_mov_b32 s17, 0
	s_cbranch_execnz .LBB1_80
.LBB1_79:                               ;   in Loop: Header=BB1_33 Depth=2
	global_load_dwordx2 v[14:15], v50, s[4:5]
	s_add_i32 s17, s16, -8
	s_add_u32 s4, s4, 8
	s_addc_u32 s5, s5, 0
.LBB1_80:                               ;   in Loop: Header=BB1_33 Depth=2
	s_cmp_gt_u32 s17, 7
	s_cbranch_scc1 .LBB1_84
; %bb.81:                               ;   in Loop: Header=BB1_33 Depth=2
	s_cmp_eq_u32 s17, 0
	s_cbranch_scc1 .LBB1_85
; %bb.82:                               ;   in Loop: Header=BB1_33 Depth=2
	v_mov_b32_e32 v16, 0
	s_mov_b64 s[12:13], 0
	v_mov_b32_e32 v17, 0
	s_mov_b64 s[14:15], s[4:5]
.LBB1_83:                               ;   Parent Loop BB1_2 Depth=1
                                        ;     Parent Loop BB1_33 Depth=2
                                        ; =>    This Inner Loop Header: Depth=3
	global_load_ubyte v18, v50, s[14:15]
	s_add_i32 s17, s17, -1
	s_waitcnt vmcnt(0)
	v_and_b32_e32 v49, 0xffff, v18
	v_lshlrev_b64 v[18:19], s12, v[49:50]
	s_add_u32 s12, s12, 8
	s_addc_u32 s13, s13, 0
	s_add_u32 s14, s14, 1
	s_addc_u32 s15, s15, 0
	v_or_b32_e32 v16, v18, v16
	s_cmp_lg_u32 s17, 0
	v_or_b32_e32 v17, v19, v17
	s_cbranch_scc1 .LBB1_83
	s_branch .LBB1_86
.LBB1_84:                               ;   in Loop: Header=BB1_33 Depth=2
	s_branch .LBB1_87
.LBB1_85:                               ;   in Loop: Header=BB1_33 Depth=2
	v_mov_b32_e32 v16, 0
	v_mov_b32_e32 v17, 0
.LBB1_86:                               ;   in Loop: Header=BB1_33 Depth=2
	s_cbranch_execnz .LBB1_88
.LBB1_87:                               ;   in Loop: Header=BB1_33 Depth=2
	global_load_dwordx2 v[16:17], v50, s[4:5]
.LBB1_88:                               ;   in Loop: Header=BB1_33 Depth=2
	v_readfirstlane_b32 s4, v55
	v_mov_b32_e32 v22, 0
	v_mov_b32_e32 v23, 0
	v_cmp_eq_u32_e64 s[4:5], s4, v55
	s_and_saveexec_b64 s[12:13], s[4:5]
	s_cbranch_execz .LBB1_94
; %bb.89:                               ;   in Loop: Header=BB1_33 Depth=2
	global_load_dwordx2 v[20:21], v50, s[28:29] offset:24 glc
	s_waitcnt vmcnt(0)
	buffer_wbinvl1_vol
	global_load_dwordx2 v[18:19], v50, s[28:29] offset:40
	global_load_dwordx2 v[22:23], v50, s[28:29]
	s_waitcnt vmcnt(1)
	v_and_b32_e32 v18, v18, v20
	v_and_b32_e32 v19, v19, v21
	v_mul_lo_u32 v19, v19, 24
	v_mul_hi_u32 v26, v18, 24
	v_mul_lo_u32 v18, v18, 24
	v_add_u32_e32 v19, v26, v19
	s_waitcnt vmcnt(0)
	v_add_co_u32_e32 v18, vcc, v22, v18
	v_addc_co_u32_e32 v19, vcc, v23, v19, vcc
	global_load_dwordx2 v[18:19], v[18:19], off glc
	s_waitcnt vmcnt(0)
	global_atomic_cmpswap_x2 v[22:23], v50, v[18:21], s[28:29] offset:24 glc
	s_waitcnt vmcnt(0)
	buffer_wbinvl1_vol
	v_cmp_ne_u64_e32 vcc, v[22:23], v[20:21]
	s_and_saveexec_b64 s[14:15], vcc
	s_cbranch_execz .LBB1_93
; %bb.90:                               ;   in Loop: Header=BB1_33 Depth=2
	s_mov_b64 s[16:17], 0
.LBB1_91:                               ;   Parent Loop BB1_2 Depth=1
                                        ;     Parent Loop BB1_33 Depth=2
                                        ; =>    This Inner Loop Header: Depth=3
	s_sleep 1
	global_load_dwordx2 v[18:19], v50, s[28:29] offset:40
	global_load_dwordx2 v[26:27], v50, s[28:29]
	v_mov_b32_e32 v20, v22
	v_mov_b32_e32 v21, v23
	s_waitcnt vmcnt(1)
	v_and_b32_e32 v18, v18, v20
	s_waitcnt vmcnt(0)
	v_mad_u64_u32 v[22:23], s[18:19], v18, 24, v[26:27]
	v_and_b32_e32 v19, v19, v21
	v_mov_b32_e32 v18, v23
	v_mad_u64_u32 v[18:19], s[18:19], v19, 24, v[18:19]
	v_mov_b32_e32 v23, v18
	global_load_dwordx2 v[18:19], v[22:23], off glc
	s_waitcnt vmcnt(0)
	global_atomic_cmpswap_x2 v[22:23], v50, v[18:21], s[28:29] offset:24 glc
	s_waitcnt vmcnt(0)
	buffer_wbinvl1_vol
	v_cmp_eq_u64_e32 vcc, v[22:23], v[20:21]
	s_or_b64 s[16:17], vcc, s[16:17]
	s_andn2_b64 exec, exec, s[16:17]
	s_cbranch_execnz .LBB1_91
; %bb.92:                               ;   in Loop: Header=BB1_33 Depth=2
	s_or_b64 exec, exec, s[16:17]
.LBB1_93:                               ;   in Loop: Header=BB1_33 Depth=2
	s_or_b64 exec, exec, s[14:15]
.LBB1_94:                               ;   in Loop: Header=BB1_33 Depth=2
	s_or_b64 exec, exec, s[12:13]
	global_load_dwordx2 v[26:27], v50, s[28:29] offset:40
	global_load_dwordx4 v[18:21], v50, s[28:29]
	v_readfirstlane_b32 s12, v22
	v_readfirstlane_b32 s13, v23
	s_mov_b64 s[14:15], exec
	s_waitcnt vmcnt(1)
	v_readfirstlane_b32 s16, v26
	v_readfirstlane_b32 s17, v27
	s_and_b64 s[16:17], s[12:13], s[16:17]
	s_mul_i32 s18, s17, 24
	s_mul_hi_u32 s19, s16, 24
	s_mul_i32 s20, s16, 24
	s_add_i32 s18, s19, s18
	v_mov_b32_e32 v23, s18
	s_waitcnt vmcnt(0)
	v_add_co_u32_e32 v22, vcc, s20, v18
	v_addc_co_u32_e32 v23, vcc, v19, v23, vcc
	s_and_saveexec_b64 s[18:19], s[4:5]
	s_cbranch_execz .LBB1_96
; %bb.95:                               ;   in Loop: Header=BB1_33 Depth=2
	v_mov_b32_e32 v52, s15
	v_mov_b32_e32 v51, s14
	global_store_dwordx4 v[22:23], v[51:54], off offset:8
.LBB1_96:                               ;   in Loop: Header=BB1_33 Depth=2
	s_or_b64 exec, exec, s[18:19]
	s_lshl_b64 s[14:15], s[16:17], 12
	v_mov_b32_e32 v26, s15
	v_add_co_u32_e32 v20, vcc, s14, v20
	v_addc_co_u32_e32 v21, vcc, v21, v26, vcc
	v_cmp_gt_u64_e64 vcc, s[8:9], 56
	v_or_b32_e32 v27, v2, v25
	s_lshl_b32 s14, s10, 2
	v_cndmask_b32_e32 v2, v27, v2, vcc
	s_add_i32 s14, s14, 28
	v_or_b32_e32 v26, 0, v3
	s_and_b32 s14, s14, 0x1e0
	v_and_b32_e32 v2, 0xffffff1f, v2
	v_cndmask_b32_e32 v3, v26, v3, vcc
	v_or_b32_e32 v2, s14, v2
	v_lshlrev_b32_e32 v26, 6, v55
	v_readfirstlane_b32 s14, v20
	v_readfirstlane_b32 s15, v21
	s_nop 4
	global_store_dwordx4 v26, v[2:5], s[14:15]
	global_store_dwordx4 v26, v[6:9], s[14:15] offset:16
	global_store_dwordx4 v26, v[10:13], s[14:15] offset:32
	global_store_dwordx4 v26, v[14:17], s[14:15] offset:48
	s_and_saveexec_b64 s[14:15], s[4:5]
	s_cbranch_execz .LBB1_104
; %bb.97:                               ;   in Loop: Header=BB1_33 Depth=2
	global_load_dwordx2 v[10:11], v50, s[28:29] offset:32 glc
	global_load_dwordx2 v[2:3], v50, s[28:29] offset:40
	v_mov_b32_e32 v8, s12
	v_mov_b32_e32 v9, s13
	s_waitcnt vmcnt(0)
	v_readfirstlane_b32 s16, v2
	v_readfirstlane_b32 s17, v3
	s_and_b64 s[16:17], s[16:17], s[12:13]
	s_mul_i32 s17, s17, 24
	s_mul_hi_u32 s18, s16, 24
	s_mul_i32 s16, s16, 24
	s_add_i32 s17, s18, s17
	v_mov_b32_e32 v2, s17
	v_add_co_u32_e32 v6, vcc, s16, v18
	v_addc_co_u32_e32 v7, vcc, v19, v2, vcc
	global_store_dwordx2 v[6:7], v[10:11], off
	s_waitcnt vmcnt(0)
	global_atomic_cmpswap_x2 v[4:5], v50, v[8:11], s[28:29] offset:32 glc
	s_waitcnt vmcnt(0)
	v_cmp_ne_u64_e32 vcc, v[4:5], v[10:11]
	s_and_saveexec_b64 s[16:17], vcc
	s_cbranch_execz .LBB1_100
; %bb.98:                               ;   in Loop: Header=BB1_33 Depth=2
	s_mov_b64 s[18:19], 0
.LBB1_99:                               ;   Parent Loop BB1_2 Depth=1
                                        ;     Parent Loop BB1_33 Depth=2
                                        ; =>    This Inner Loop Header: Depth=3
	s_sleep 1
	global_store_dwordx2 v[6:7], v[4:5], off
	v_mov_b32_e32 v2, s12
	v_mov_b32_e32 v3, s13
	s_waitcnt vmcnt(0)
	global_atomic_cmpswap_x2 v[2:3], v50, v[2:5], s[28:29] offset:32 glc
	s_waitcnt vmcnt(0)
	v_cmp_eq_u64_e32 vcc, v[2:3], v[4:5]
	v_mov_b32_e32 v5, v3
	s_or_b64 s[18:19], vcc, s[18:19]
	v_mov_b32_e32 v4, v2
	s_andn2_b64 exec, exec, s[18:19]
	s_cbranch_execnz .LBB1_99
.LBB1_100:                              ;   in Loop: Header=BB1_33 Depth=2
	s_or_b64 exec, exec, s[16:17]
	global_load_dwordx2 v[2:3], v50, s[28:29] offset:16
	s_mov_b64 s[18:19], exec
	v_mbcnt_lo_u32_b32 v4, s18, 0
	v_mbcnt_hi_u32_b32 v4, s19, v4
	v_cmp_eq_u32_e32 vcc, 0, v4
	s_and_saveexec_b64 s[16:17], vcc
	s_cbranch_execz .LBB1_102
; %bb.101:                              ;   in Loop: Header=BB1_33 Depth=2
	s_bcnt1_i32_b64 s18, s[18:19]
	v_mov_b32_e32 v49, s18
	s_waitcnt vmcnt(0)
	global_atomic_add_x2 v[2:3], v[49:50], off offset:8
.LBB1_102:                              ;   in Loop: Header=BB1_33 Depth=2
	s_or_b64 exec, exec, s[16:17]
	s_waitcnt vmcnt(0)
	global_load_dwordx2 v[4:5], v[2:3], off offset:16
	s_waitcnt vmcnt(0)
	v_cmp_eq_u64_e32 vcc, 0, v[4:5]
	s_cbranch_vccnz .LBB1_104
; %bb.103:                              ;   in Loop: Header=BB1_33 Depth=2
	global_load_dword v49, v[2:3], off offset:24
	s_waitcnt vmcnt(0)
	v_and_b32_e32 v2, 0xffffff, v49
	v_readfirstlane_b32 m0, v2
	global_store_dwordx2 v[4:5], v[49:50], off
	s_sendmsg sendmsg(MSG_INTERRUPT)
.LBB1_104:                              ;   in Loop: Header=BB1_33 Depth=2
	s_or_b64 exec, exec, s[14:15]
	v_add_co_u32_e32 v2, vcc, v20, v26
	v_addc_co_u32_e32 v3, vcc, 0, v21, vcc
	s_branch .LBB1_108
.LBB1_105:                              ;   in Loop: Header=BB1_108 Depth=3
	s_or_b64 exec, exec, s[14:15]
	v_readfirstlane_b32 s14, v4
	s_cmp_eq_u32 s14, 0
	s_cbranch_scc1 .LBB1_107
; %bb.106:                              ;   in Loop: Header=BB1_108 Depth=3
	s_sleep 1
	s_cbranch_execnz .LBB1_108
	s_branch .LBB1_110
.LBB1_107:                              ;   in Loop: Header=BB1_33 Depth=2
	s_branch .LBB1_110
.LBB1_108:                              ;   Parent Loop BB1_2 Depth=1
                                        ;     Parent Loop BB1_33 Depth=2
                                        ; =>    This Inner Loop Header: Depth=3
	v_mov_b32_e32 v4, 1
	s_and_saveexec_b64 s[14:15], s[4:5]
	s_cbranch_execz .LBB1_105
; %bb.109:                              ;   in Loop: Header=BB1_108 Depth=3
	global_load_dword v4, v[22:23], off offset:20 glc
	s_waitcnt vmcnt(0)
	buffer_wbinvl1_vol
	v_and_b32_e32 v4, 1, v4
	s_branch .LBB1_105
.LBB1_110:                              ;   in Loop: Header=BB1_33 Depth=2
	global_load_dwordx4 v[2:5], v[2:3], off
	s_and_saveexec_b64 s[14:15], s[4:5]
	s_cbranch_execz .LBB1_32
; %bb.111:                              ;   in Loop: Header=BB1_33 Depth=2
	global_load_dwordx2 v[6:7], v50, s[28:29] offset:40
	global_load_dwordx2 v[10:11], v50, s[28:29] offset:24 glc
	global_load_dwordx2 v[8:9], v50, s[28:29]
	s_waitcnt vmcnt(3)
	v_mov_b32_e32 v5, s13
	s_waitcnt vmcnt(2)
	v_add_co_u32_e32 v12, vcc, 1, v6
	v_addc_co_u32_e32 v13, vcc, 0, v7, vcc
	v_add_co_u32_e32 v4, vcc, s12, v12
	v_addc_co_u32_e32 v5, vcc, v13, v5, vcc
	v_cmp_eq_u64_e32 vcc, 0, v[4:5]
	v_cndmask_b32_e32 v5, v5, v13, vcc
	v_cndmask_b32_e32 v4, v4, v12, vcc
	v_and_b32_e32 v7, v5, v7
	v_and_b32_e32 v6, v4, v6
	v_mul_lo_u32 v7, v7, 24
	v_mul_hi_u32 v12, v6, 24
	v_mul_lo_u32 v13, v6, 24
	s_waitcnt vmcnt(1)
	v_mov_b32_e32 v6, v10
	v_add_u32_e32 v7, v12, v7
	s_waitcnt vmcnt(0)
	v_add_co_u32_e32 v8, vcc, v8, v13
	v_addc_co_u32_e32 v9, vcc, v9, v7, vcc
	global_store_dwordx2 v[8:9], v[10:11], off
	v_mov_b32_e32 v7, v11
	s_waitcnt vmcnt(0)
	global_atomic_cmpswap_x2 v[6:7], v50, v[4:7], s[28:29] offset:24 glc
	s_waitcnt vmcnt(0)
	v_cmp_ne_u64_e32 vcc, v[6:7], v[10:11]
	s_and_b64 exec, exec, vcc
	s_cbranch_execz .LBB1_32
; %bb.112:                              ;   in Loop: Header=BB1_33 Depth=2
	s_mov_b64 s[4:5], 0
.LBB1_113:                              ;   Parent Loop BB1_2 Depth=1
                                        ;     Parent Loop BB1_33 Depth=2
                                        ; =>    This Inner Loop Header: Depth=3
	s_sleep 1
	global_store_dwordx2 v[8:9], v[6:7], off
	s_waitcnt vmcnt(0)
	global_atomic_cmpswap_x2 v[10:11], v50, v[4:7], s[28:29] offset:24 glc
	s_waitcnt vmcnt(0)
	v_cmp_eq_u64_e32 vcc, v[10:11], v[6:7]
	v_mov_b32_e32 v6, v10
	s_or_b64 s[4:5], vcc, s[4:5]
	v_mov_b32_e32 v7, v11
	s_andn2_b64 exec, exec, s[4:5]
	s_cbranch_execnz .LBB1_113
	s_branch .LBB1_32
.LBB1_114:                              ;   in Loop: Header=BB1_2 Depth=1
	s_branch .LBB1_143
.LBB1_115:                              ;   in Loop: Header=BB1_2 Depth=1
                                        ; implicit-def: $vgpr2_vgpr3
	s_cbranch_execz .LBB1_143
; %bb.116:                              ;   in Loop: Header=BB1_2 Depth=1
	v_readfirstlane_b32 s4, v55
	s_waitcnt vmcnt(0)
	v_mov_b32_e32 v2, 0
	v_mov_b32_e32 v3, 0
	v_cmp_eq_u32_e64 s[4:5], s4, v55
	s_and_saveexec_b64 s[6:7], s[4:5]
	s_cbranch_execz .LBB1_122
; %bb.117:                              ;   in Loop: Header=BB1_2 Depth=1
	global_load_dwordx2 v[4:5], v50, s[28:29] offset:24 glc
	s_waitcnt vmcnt(0)
	buffer_wbinvl1_vol
	global_load_dwordx2 v[2:3], v50, s[28:29] offset:40
	global_load_dwordx2 v[6:7], v50, s[28:29]
	s_waitcnt vmcnt(1)
	v_and_b32_e32 v2, v2, v4
	v_and_b32_e32 v3, v3, v5
	v_mul_lo_u32 v3, v3, 24
	v_mul_hi_u32 v8, v2, 24
	v_mul_lo_u32 v2, v2, 24
	v_add_u32_e32 v3, v8, v3
	s_waitcnt vmcnt(0)
	v_add_co_u32_e32 v2, vcc, v6, v2
	v_addc_co_u32_e32 v3, vcc, v7, v3, vcc
	global_load_dwordx2 v[2:3], v[2:3], off glc
	s_waitcnt vmcnt(0)
	global_atomic_cmpswap_x2 v[2:3], v50, v[2:5], s[28:29] offset:24 glc
	s_waitcnt vmcnt(0)
	buffer_wbinvl1_vol
	v_cmp_ne_u64_e32 vcc, v[2:3], v[4:5]
	s_and_saveexec_b64 s[8:9], vcc
	s_cbranch_execz .LBB1_121
; %bb.118:                              ;   in Loop: Header=BB1_2 Depth=1
	s_mov_b64 s[10:11], 0
.LBB1_119:                              ;   Parent Loop BB1_2 Depth=1
                                        ; =>  This Inner Loop Header: Depth=2
	s_sleep 1
	global_load_dwordx2 v[6:7], v50, s[28:29] offset:40
	global_load_dwordx2 v[8:9], v50, s[28:29]
	v_mov_b32_e32 v5, v3
	v_mov_b32_e32 v4, v2
	s_waitcnt vmcnt(1)
	v_and_b32_e32 v2, v6, v4
	s_waitcnt vmcnt(0)
	v_mad_u64_u32 v[2:3], s[12:13], v2, 24, v[8:9]
	v_and_b32_e32 v6, v7, v5
	v_mad_u64_u32 v[6:7], s[12:13], v6, 24, v[3:4]
	v_mov_b32_e32 v3, v6
	global_load_dwordx2 v[2:3], v[2:3], off glc
	s_waitcnt vmcnt(0)
	global_atomic_cmpswap_x2 v[2:3], v50, v[2:5], s[28:29] offset:24 glc
	s_waitcnt vmcnt(0)
	buffer_wbinvl1_vol
	v_cmp_eq_u64_e32 vcc, v[2:3], v[4:5]
	s_or_b64 s[10:11], vcc, s[10:11]
	s_andn2_b64 exec, exec, s[10:11]
	s_cbranch_execnz .LBB1_119
; %bb.120:                              ;   in Loop: Header=BB1_2 Depth=1
	s_or_b64 exec, exec, s[10:11]
.LBB1_121:                              ;   in Loop: Header=BB1_2 Depth=1
	s_or_b64 exec, exec, s[8:9]
.LBB1_122:                              ;   in Loop: Header=BB1_2 Depth=1
	s_or_b64 exec, exec, s[6:7]
	global_load_dwordx2 v[8:9], v50, s[28:29] offset:40
	global_load_dwordx4 v[4:7], v50, s[28:29]
	v_readfirstlane_b32 s6, v2
	v_readfirstlane_b32 s7, v3
	s_mov_b64 s[8:9], exec
	s_waitcnt vmcnt(1)
	v_readfirstlane_b32 s10, v8
	v_readfirstlane_b32 s11, v9
	s_and_b64 s[10:11], s[6:7], s[10:11]
	s_mul_i32 s12, s11, 24
	s_mul_hi_u32 s13, s10, 24
	s_mul_i32 s14, s10, 24
	s_add_i32 s12, s13, s12
	v_mov_b32_e32 v2, s12
	s_waitcnt vmcnt(0)
	v_add_co_u32_e32 v8, vcc, s14, v4
	v_addc_co_u32_e32 v9, vcc, v5, v2, vcc
	s_and_saveexec_b64 s[12:13], s[4:5]
	s_cbranch_execz .LBB1_124
; %bb.123:                              ;   in Loop: Header=BB1_2 Depth=1
	v_mov_b32_e32 v52, s9
	v_mov_b32_e32 v51, s8
	global_store_dwordx4 v[8:9], v[51:54], off offset:8
.LBB1_124:                              ;   in Loop: Header=BB1_2 Depth=1
	s_or_b64 exec, exec, s[12:13]
	s_lshl_b64 s[8:9], s[10:11], 12
	v_mov_b32_e32 v2, s9
	v_add_co_u32_e32 v6, vcc, s8, v6
	v_addc_co_u32_e32 v7, vcc, v7, v2, vcc
	v_and_or_b32 v0, v0, s23, 32
	v_lshlrev_b32_e32 v10, 6, v55
	v_mov_b32_e32 v2, v50
	v_mov_b32_e32 v3, v50
	v_readfirstlane_b32 s8, v6
	v_readfirstlane_b32 s9, v7
	s_nop 4
	global_store_dwordx4 v10, v[0:3], s[8:9]
	s_nop 0
	v_mov_b32_e32 v0, s36
	v_mov_b32_e32 v1, s37
	;; [unrolled: 1-line block ×4, first 2 shown]
	global_store_dwordx4 v10, v[0:3], s[8:9] offset:16
	global_store_dwordx4 v10, v[0:3], s[8:9] offset:32
	;; [unrolled: 1-line block ×3, first 2 shown]
	s_and_saveexec_b64 s[8:9], s[4:5]
	s_cbranch_execz .LBB1_132
; %bb.125:                              ;   in Loop: Header=BB1_2 Depth=1
	global_load_dwordx2 v[13:14], v50, s[28:29] offset:32 glc
	global_load_dwordx2 v[0:1], v50, s[28:29] offset:40
	v_mov_b32_e32 v11, s6
	v_mov_b32_e32 v12, s7
	s_waitcnt vmcnt(0)
	v_readfirstlane_b32 s10, v0
	v_readfirstlane_b32 s11, v1
	s_and_b64 s[10:11], s[10:11], s[6:7]
	s_mul_i32 s11, s11, 24
	s_mul_hi_u32 s12, s10, 24
	s_mul_i32 s10, s10, 24
	s_add_i32 s11, s12, s11
	v_mov_b32_e32 v0, s11
	v_add_co_u32_e32 v4, vcc, s10, v4
	v_addc_co_u32_e32 v5, vcc, v5, v0, vcc
	global_store_dwordx2 v[4:5], v[13:14], off
	s_waitcnt vmcnt(0)
	global_atomic_cmpswap_x2 v[2:3], v50, v[11:14], s[28:29] offset:32 glc
	s_waitcnt vmcnt(0)
	v_cmp_ne_u64_e32 vcc, v[2:3], v[13:14]
	s_and_saveexec_b64 s[10:11], vcc
	s_cbranch_execz .LBB1_128
; %bb.126:                              ;   in Loop: Header=BB1_2 Depth=1
	s_mov_b64 s[12:13], 0
.LBB1_127:                              ;   Parent Loop BB1_2 Depth=1
                                        ; =>  This Inner Loop Header: Depth=2
	s_sleep 1
	global_store_dwordx2 v[4:5], v[2:3], off
	v_mov_b32_e32 v0, s6
	v_mov_b32_e32 v1, s7
	s_waitcnt vmcnt(0)
	global_atomic_cmpswap_x2 v[0:1], v50, v[0:3], s[28:29] offset:32 glc
	s_waitcnt vmcnt(0)
	v_cmp_eq_u64_e32 vcc, v[0:1], v[2:3]
	v_mov_b32_e32 v3, v1
	s_or_b64 s[12:13], vcc, s[12:13]
	v_mov_b32_e32 v2, v0
	s_andn2_b64 exec, exec, s[12:13]
	s_cbranch_execnz .LBB1_127
.LBB1_128:                              ;   in Loop: Header=BB1_2 Depth=1
	s_or_b64 exec, exec, s[10:11]
	global_load_dwordx2 v[0:1], v50, s[28:29] offset:16
	s_mov_b64 s[12:13], exec
	v_mbcnt_lo_u32_b32 v2, s12, 0
	v_mbcnt_hi_u32_b32 v2, s13, v2
	v_cmp_eq_u32_e32 vcc, 0, v2
	s_and_saveexec_b64 s[10:11], vcc
	s_cbranch_execz .LBB1_130
; %bb.129:                              ;   in Loop: Header=BB1_2 Depth=1
	s_bcnt1_i32_b64 s12, s[12:13]
	v_mov_b32_e32 v49, s12
	s_waitcnt vmcnt(0)
	global_atomic_add_x2 v[0:1], v[49:50], off offset:8
.LBB1_130:                              ;   in Loop: Header=BB1_2 Depth=1
	s_or_b64 exec, exec, s[10:11]
	s_waitcnt vmcnt(0)
	global_load_dwordx2 v[2:3], v[0:1], off offset:16
	s_waitcnt vmcnt(0)
	v_cmp_eq_u64_e32 vcc, 0, v[2:3]
	s_cbranch_vccnz .LBB1_132
; %bb.131:                              ;   in Loop: Header=BB1_2 Depth=1
	global_load_dword v49, v[0:1], off offset:24
	s_waitcnt vmcnt(0)
	v_and_b32_e32 v0, 0xffffff, v49
	v_readfirstlane_b32 m0, v0
	global_store_dwordx2 v[2:3], v[49:50], off
	s_sendmsg sendmsg(MSG_INTERRUPT)
.LBB1_132:                              ;   in Loop: Header=BB1_2 Depth=1
	s_or_b64 exec, exec, s[8:9]
	v_add_co_u32_e32 v0, vcc, v6, v10
	v_addc_co_u32_e32 v1, vcc, 0, v7, vcc
	s_branch .LBB1_136
.LBB1_133:                              ;   in Loop: Header=BB1_136 Depth=2
	s_or_b64 exec, exec, s[8:9]
	v_readfirstlane_b32 s8, v2
	s_cmp_eq_u32 s8, 0
	s_cbranch_scc1 .LBB1_135
; %bb.134:                              ;   in Loop: Header=BB1_136 Depth=2
	s_sleep 1
	s_cbranch_execnz .LBB1_136
	s_branch .LBB1_138
.LBB1_135:                              ;   in Loop: Header=BB1_2 Depth=1
	s_branch .LBB1_138
.LBB1_136:                              ;   Parent Loop BB1_2 Depth=1
                                        ; =>  This Inner Loop Header: Depth=2
	v_mov_b32_e32 v2, 1
	s_and_saveexec_b64 s[8:9], s[4:5]
	s_cbranch_execz .LBB1_133
; %bb.137:                              ;   in Loop: Header=BB1_136 Depth=2
	global_load_dword v2, v[8:9], off offset:20 glc
	s_waitcnt vmcnt(0)
	buffer_wbinvl1_vol
	v_and_b32_e32 v2, 1, v2
	s_branch .LBB1_133
.LBB1_138:                              ;   in Loop: Header=BB1_2 Depth=1
	global_load_dwordx2 v[2:3], v[0:1], off
	s_and_saveexec_b64 s[8:9], s[4:5]
	s_cbranch_execz .LBB1_142
; %bb.139:                              ;   in Loop: Header=BB1_2 Depth=1
	global_load_dwordx2 v[0:1], v50, s[28:29] offset:40
	global_load_dwordx2 v[8:9], v50, s[28:29] offset:24 glc
	global_load_dwordx2 v[10:11], v50, s[28:29]
	v_mov_b32_e32 v5, s7
	s_waitcnt vmcnt(2)
	v_add_co_u32_e32 v6, vcc, 1, v0
	v_addc_co_u32_e32 v7, vcc, 0, v1, vcc
	v_add_co_u32_e32 v4, vcc, s6, v6
	v_addc_co_u32_e32 v5, vcc, v7, v5, vcc
	v_cmp_eq_u64_e32 vcc, 0, v[4:5]
	v_cndmask_b32_e32 v5, v5, v7, vcc
	v_cndmask_b32_e32 v4, v4, v6, vcc
	v_and_b32_e32 v1, v5, v1
	v_and_b32_e32 v0, v4, v0
	v_mul_lo_u32 v1, v1, 24
	v_mul_hi_u32 v7, v0, 24
	v_mul_lo_u32 v0, v0, 24
	s_waitcnt vmcnt(1)
	v_mov_b32_e32 v6, v8
	v_add_u32_e32 v1, v7, v1
	s_waitcnt vmcnt(0)
	v_add_co_u32_e32 v0, vcc, v10, v0
	v_addc_co_u32_e32 v1, vcc, v11, v1, vcc
	global_store_dwordx2 v[0:1], v[8:9], off
	v_mov_b32_e32 v7, v9
	s_waitcnt vmcnt(0)
	global_atomic_cmpswap_x2 v[6:7], v50, v[4:7], s[28:29] offset:24 glc
	s_waitcnt vmcnt(0)
	v_cmp_ne_u64_e32 vcc, v[6:7], v[8:9]
	s_and_b64 exec, exec, vcc
	s_cbranch_execz .LBB1_142
; %bb.140:                              ;   in Loop: Header=BB1_2 Depth=1
	s_mov_b64 s[4:5], 0
.LBB1_141:                              ;   Parent Loop BB1_2 Depth=1
                                        ; =>  This Inner Loop Header: Depth=2
	s_sleep 1
	global_store_dwordx2 v[0:1], v[6:7], off
	s_waitcnt vmcnt(0)
	global_atomic_cmpswap_x2 v[8:9], v50, v[4:7], s[28:29] offset:24 glc
	s_waitcnt vmcnt(0)
	v_cmp_eq_u64_e32 vcc, v[8:9], v[6:7]
	v_mov_b32_e32 v6, v8
	s_or_b64 s[4:5], vcc, s[4:5]
	v_mov_b32_e32 v7, v9
	s_andn2_b64 exec, exec, s[4:5]
	s_cbranch_execnz .LBB1_141
.LBB1_142:                              ;   in Loop: Header=BB1_2 Depth=1
	s_or_b64 exec, exec, s[8:9]
.LBB1_143:                              ;   in Loop: Header=BB1_2 Depth=1
	v_readfirstlane_b32 s4, v55
	s_waitcnt vmcnt(0)
	v_mov_b32_e32 v0, 0
	v_mov_b32_e32 v1, 0
	v_cmp_eq_u32_e64 s[4:5], s4, v55
	s_and_saveexec_b64 s[6:7], s[4:5]
	s_cbranch_execz .LBB1_149
; %bb.144:                              ;   in Loop: Header=BB1_2 Depth=1
	global_load_dwordx2 v[6:7], v50, s[28:29] offset:24 glc
	s_waitcnt vmcnt(0)
	buffer_wbinvl1_vol
	global_load_dwordx2 v[0:1], v50, s[28:29] offset:40
	global_load_dwordx2 v[4:5], v50, s[28:29]
	s_waitcnt vmcnt(1)
	v_and_b32_e32 v0, v0, v6
	v_and_b32_e32 v1, v1, v7
	v_mul_lo_u32 v1, v1, 24
	v_mul_hi_u32 v8, v0, 24
	v_mul_lo_u32 v0, v0, 24
	v_add_u32_e32 v1, v8, v1
	s_waitcnt vmcnt(0)
	v_add_co_u32_e32 v0, vcc, v4, v0
	v_addc_co_u32_e32 v1, vcc, v5, v1, vcc
	global_load_dwordx2 v[4:5], v[0:1], off glc
	s_waitcnt vmcnt(0)
	global_atomic_cmpswap_x2 v[0:1], v50, v[4:7], s[28:29] offset:24 glc
	s_waitcnt vmcnt(0)
	buffer_wbinvl1_vol
	v_cmp_ne_u64_e32 vcc, v[0:1], v[6:7]
	s_and_saveexec_b64 s[8:9], vcc
	s_cbranch_execz .LBB1_148
; %bb.145:                              ;   in Loop: Header=BB1_2 Depth=1
	s_mov_b64 s[10:11], 0
.LBB1_146:                              ;   Parent Loop BB1_2 Depth=1
                                        ; =>  This Inner Loop Header: Depth=2
	s_sleep 1
	global_load_dwordx2 v[4:5], v50, s[28:29] offset:40
	global_load_dwordx2 v[8:9], v50, s[28:29]
	v_mov_b32_e32 v7, v1
	v_mov_b32_e32 v6, v0
	s_waitcnt vmcnt(1)
	v_and_b32_e32 v0, v4, v6
	s_waitcnt vmcnt(0)
	v_mad_u64_u32 v[0:1], s[12:13], v0, 24, v[8:9]
	v_and_b32_e32 v4, v5, v7
	v_mad_u64_u32 v[4:5], s[12:13], v4, 24, v[1:2]
	v_mov_b32_e32 v1, v4
	global_load_dwordx2 v[4:5], v[0:1], off glc
	s_waitcnt vmcnt(0)
	global_atomic_cmpswap_x2 v[0:1], v50, v[4:7], s[28:29] offset:24 glc
	s_waitcnt vmcnt(0)
	buffer_wbinvl1_vol
	v_cmp_eq_u64_e32 vcc, v[0:1], v[6:7]
	s_or_b64 s[10:11], vcc, s[10:11]
	s_andn2_b64 exec, exec, s[10:11]
	s_cbranch_execnz .LBB1_146
; %bb.147:                              ;   in Loop: Header=BB1_2 Depth=1
	s_or_b64 exec, exec, s[10:11]
.LBB1_148:                              ;   in Loop: Header=BB1_2 Depth=1
	s_or_b64 exec, exec, s[8:9]
.LBB1_149:                              ;   in Loop: Header=BB1_2 Depth=1
	s_or_b64 exec, exec, s[6:7]
	global_load_dwordx2 v[4:5], v50, s[28:29] offset:40
	global_load_dwordx4 v[6:9], v50, s[28:29]
	v_readfirstlane_b32 s6, v0
	v_readfirstlane_b32 s7, v1
	s_mov_b64 s[8:9], exec
	s_waitcnt vmcnt(1)
	v_readfirstlane_b32 s10, v4
	v_readfirstlane_b32 s11, v5
	s_and_b64 s[10:11], s[6:7], s[10:11]
	s_mul_i32 s12, s11, 24
	s_mul_hi_u32 s13, s10, 24
	s_mul_i32 s14, s10, 24
	s_add_i32 s12, s13, s12
	v_mov_b32_e32 v0, s12
	s_waitcnt vmcnt(0)
	v_add_co_u32_e32 v10, vcc, s14, v6
	v_addc_co_u32_e32 v11, vcc, v7, v0, vcc
	s_and_saveexec_b64 s[12:13], s[4:5]
	s_cbranch_execz .LBB1_151
; %bb.150:                              ;   in Loop: Header=BB1_2 Depth=1
	v_mov_b32_e32 v52, s9
	v_mov_b32_e32 v51, s8
	global_store_dwordx4 v[10:11], v[51:54], off offset:8
.LBB1_151:                              ;   in Loop: Header=BB1_2 Depth=1
	s_or_b64 exec, exec, s[12:13]
	s_lshl_b64 s[8:9], s[10:11], 12
	v_mov_b32_e32 v0, s9
	v_add_co_u32_e32 v1, vcc, s8, v8
	v_addc_co_u32_e32 v0, vcc, v9, v0, vcc
	v_and_or_b32 v2, v2, s40, 34
	v_ashrrev_i32_e32 v5, 31, v24
	v_lshlrev_b32_e32 v8, 6, v55
	v_mov_b32_e32 v4, v24
	v_readfirstlane_b32 s8, v1
	v_readfirstlane_b32 s9, v0
	s_nop 4
	global_store_dwordx4 v8, v[2:5], s[8:9]
	v_mov_b32_e32 v0, s36
	v_mov_b32_e32 v1, s37
	;; [unrolled: 1-line block ×4, first 2 shown]
	global_store_dwordx4 v8, v[0:3], s[8:9] offset:16
	global_store_dwordx4 v8, v[0:3], s[8:9] offset:32
	;; [unrolled: 1-line block ×3, first 2 shown]
	s_and_saveexec_b64 s[8:9], s[4:5]
	s_cbranch_execz .LBB1_159
; %bb.152:                              ;   in Loop: Header=BB1_2 Depth=1
	global_load_dwordx2 v[14:15], v50, s[28:29] offset:32 glc
	global_load_dwordx2 v[0:1], v50, s[28:29] offset:40
	v_mov_b32_e32 v12, s6
	v_mov_b32_e32 v13, s7
	s_waitcnt vmcnt(0)
	v_readfirstlane_b32 s10, v0
	v_readfirstlane_b32 s11, v1
	s_and_b64 s[10:11], s[10:11], s[6:7]
	s_mul_i32 s11, s11, 24
	s_mul_hi_u32 s12, s10, 24
	s_mul_i32 s10, s10, 24
	s_add_i32 s11, s12, s11
	v_mov_b32_e32 v0, s11
	v_add_co_u32_e32 v4, vcc, s10, v6
	v_addc_co_u32_e32 v5, vcc, v7, v0, vcc
	global_store_dwordx2 v[4:5], v[14:15], off
	s_waitcnt vmcnt(0)
	global_atomic_cmpswap_x2 v[2:3], v50, v[12:15], s[28:29] offset:32 glc
	s_waitcnt vmcnt(0)
	v_cmp_ne_u64_e32 vcc, v[2:3], v[14:15]
	s_and_saveexec_b64 s[10:11], vcc
	s_cbranch_execz .LBB1_155
; %bb.153:                              ;   in Loop: Header=BB1_2 Depth=1
	s_mov_b64 s[12:13], 0
.LBB1_154:                              ;   Parent Loop BB1_2 Depth=1
                                        ; =>  This Inner Loop Header: Depth=2
	s_sleep 1
	global_store_dwordx2 v[4:5], v[2:3], off
	v_mov_b32_e32 v0, s6
	v_mov_b32_e32 v1, s7
	s_waitcnt vmcnt(0)
	global_atomic_cmpswap_x2 v[0:1], v50, v[0:3], s[28:29] offset:32 glc
	s_waitcnt vmcnt(0)
	v_cmp_eq_u64_e32 vcc, v[0:1], v[2:3]
	v_mov_b32_e32 v3, v1
	s_or_b64 s[12:13], vcc, s[12:13]
	v_mov_b32_e32 v2, v0
	s_andn2_b64 exec, exec, s[12:13]
	s_cbranch_execnz .LBB1_154
.LBB1_155:                              ;   in Loop: Header=BB1_2 Depth=1
	s_or_b64 exec, exec, s[10:11]
	global_load_dwordx2 v[0:1], v50, s[28:29] offset:16
	s_mov_b64 s[12:13], exec
	v_mbcnt_lo_u32_b32 v2, s12, 0
	v_mbcnt_hi_u32_b32 v2, s13, v2
	v_cmp_eq_u32_e32 vcc, 0, v2
	s_and_saveexec_b64 s[10:11], vcc
	s_cbranch_execz .LBB1_157
; %bb.156:                              ;   in Loop: Header=BB1_2 Depth=1
	s_bcnt1_i32_b64 s12, s[12:13]
	v_mov_b32_e32 v49, s12
	s_waitcnt vmcnt(0)
	global_atomic_add_x2 v[0:1], v[49:50], off offset:8
.LBB1_157:                              ;   in Loop: Header=BB1_2 Depth=1
	s_or_b64 exec, exec, s[10:11]
	s_waitcnt vmcnt(0)
	global_load_dwordx2 v[2:3], v[0:1], off offset:16
	s_waitcnt vmcnt(0)
	v_cmp_eq_u64_e32 vcc, 0, v[2:3]
	s_cbranch_vccnz .LBB1_159
; %bb.158:                              ;   in Loop: Header=BB1_2 Depth=1
	global_load_dword v49, v[0:1], off offset:24
	s_waitcnt vmcnt(0)
	v_and_b32_e32 v0, 0xffffff, v49
	v_readfirstlane_b32 m0, v0
	global_store_dwordx2 v[2:3], v[49:50], off
	s_sendmsg sendmsg(MSG_INTERRUPT)
.LBB1_159:                              ;   in Loop: Header=BB1_2 Depth=1
	s_or_b64 exec, exec, s[8:9]
	s_branch .LBB1_163
.LBB1_160:                              ;   in Loop: Header=BB1_163 Depth=2
	s_or_b64 exec, exec, s[8:9]
	v_readfirstlane_b32 s8, v0
	s_cmp_eq_u32 s8, 0
	s_cbranch_scc1 .LBB1_162
; %bb.161:                              ;   in Loop: Header=BB1_163 Depth=2
	s_sleep 1
	s_cbranch_execnz .LBB1_163
	s_branch .LBB1_165
.LBB1_162:                              ;   in Loop: Header=BB1_2 Depth=1
	s_branch .LBB1_165
.LBB1_163:                              ;   Parent Loop BB1_2 Depth=1
                                        ; =>  This Inner Loop Header: Depth=2
	v_mov_b32_e32 v0, 1
	s_and_saveexec_b64 s[8:9], s[4:5]
	s_cbranch_execz .LBB1_160
; %bb.164:                              ;   in Loop: Header=BB1_163 Depth=2
	global_load_dword v0, v[10:11], off offset:20 glc
	s_waitcnt vmcnt(0)
	buffer_wbinvl1_vol
	v_and_b32_e32 v0, 1, v0
	s_branch .LBB1_160
.LBB1_165:                              ;   in Loop: Header=BB1_2 Depth=1
	s_and_saveexec_b64 s[8:9], s[4:5]
	s_cbranch_execz .LBB1_1
; %bb.166:                              ;   in Loop: Header=BB1_2 Depth=1
	global_load_dwordx2 v[2:3], v50, s[28:29] offset:40
	global_load_dwordx2 v[6:7], v50, s[28:29] offset:24 glc
	global_load_dwordx2 v[4:5], v50, s[28:29]
	v_mov_b32_e32 v1, s7
	s_waitcnt vmcnt(2)
	v_add_co_u32_e32 v8, vcc, 1, v2
	v_addc_co_u32_e32 v9, vcc, 0, v3, vcc
	v_add_co_u32_e32 v0, vcc, s6, v8
	v_addc_co_u32_e32 v1, vcc, v9, v1, vcc
	v_cmp_eq_u64_e32 vcc, 0, v[0:1]
	v_cndmask_b32_e32 v1, v1, v9, vcc
	v_cndmask_b32_e32 v0, v0, v8, vcc
	v_and_b32_e32 v3, v1, v3
	v_and_b32_e32 v2, v0, v2
	v_mul_lo_u32 v3, v3, 24
	v_mul_hi_u32 v8, v2, 24
	v_mul_lo_u32 v9, v2, 24
	s_waitcnt vmcnt(1)
	v_mov_b32_e32 v2, v6
	v_add_u32_e32 v3, v8, v3
	s_waitcnt vmcnt(0)
	v_add_co_u32_e32 v4, vcc, v4, v9
	v_addc_co_u32_e32 v5, vcc, v5, v3, vcc
	global_store_dwordx2 v[4:5], v[6:7], off
	v_mov_b32_e32 v3, v7
	s_waitcnt vmcnt(0)
	global_atomic_cmpswap_x2 v[2:3], v50, v[0:3], s[28:29] offset:24 glc
	s_waitcnt vmcnt(0)
	v_cmp_ne_u64_e32 vcc, v[2:3], v[6:7]
	s_and_b64 exec, exec, vcc
	s_cbranch_execz .LBB1_1
; %bb.167:                              ;   in Loop: Header=BB1_2 Depth=1
	s_mov_b64 s[4:5], 0
.LBB1_168:                              ;   Parent Loop BB1_2 Depth=1
                                        ; =>  This Inner Loop Header: Depth=2
	s_sleep 1
	global_store_dwordx2 v[4:5], v[2:3], off
	s_waitcnt vmcnt(0)
	global_atomic_cmpswap_x2 v[6:7], v50, v[0:3], s[28:29] offset:24 glc
	s_waitcnt vmcnt(0)
	v_cmp_eq_u64_e32 vcc, v[6:7], v[2:3]
	v_mov_b32_e32 v2, v6
	s_or_b64 s[4:5], vcc, s[4:5]
	v_mov_b32_e32 v3, v7
	s_andn2_b64 exec, exec, s[4:5]
	s_cbranch_execnz .LBB1_168
	s_branch .LBB1_1
.LBB1_169:
	s_getpc_b64 s[34:35]
	s_add_u32 s34, s34, .str.8@rel32@lo+4
	s_addc_u32 s35, s35, .str.8@rel32@hi+12
	s_mov_b64 s[8:9], s[24:25]
	v_mov_b32_e32 v0, s34
	v_mov_b32_e32 v1, s35
	s_getpc_b64 s[36:37]
	s_add_u32 s36, s36, _ZNK8migraphx13basic_printerIZNS_4coutEvEUlT_E_ElsEPKc@rel32@lo+4
	s_addc_u32 s37, s37, _ZNK8migraphx13basic_printerIZNS_4coutEvEUlT_E_ElsEPKc@rel32@hi+12
	s_swappc_b64 s[30:31], s[36:37]
	s_getpc_b64 s[4:5]
	s_add_u32 s4, s4, .str.10@rel32@lo+4
	s_addc_u32 s5, s5, .str.10@rel32@hi+12
	s_mov_b64 s[8:9], s[24:25]
	v_mov_b32_e32 v0, s4
	v_mov_b32_e32 v1, s5
	s_swappc_b64 s[30:31], s[36:37]
	s_mov_b64 s[8:9], s[24:25]
	v_mov_b32_e32 v0, s34
	v_mov_b32_e32 v1, s35
	s_swappc_b64 s[30:31], s[36:37]
	flat_load_dwordx2 v[52:53], v[36:37] offset:8
	s_mov_b32 s35, 0
	v_mov_b32_e32 v38, 0
	s_mov_b32 s36, s35
	s_mov_b32 s37, s35
	s_mov_b32 s38, s35
	s_mov_b32 s39, s35
	s_movk_i32 s23, 0xff1f
	s_movk_i32 s40, 0xff1d
	v_mov_b32_e32 v50, 2
	v_mov_b32_e32 v51, 1
	;; [unrolled: 1-line block ×3, first 2 shown]
	s_mov_b32 s34, s35
	s_branch .LBB1_171
.LBB1_170:                              ;   in Loop: Header=BB1_171 Depth=1
	s_or_b64 exec, exec, s[8:9]
	s_add_i32 s34, s34, 1
	s_cmp_lg_u32 s34, 4
	s_cbranch_scc0 .LBB1_338
.LBB1_171:                              ; =>This Loop Header: Depth=1
                                        ;     Child Loop BB1_176 Depth 2
                                        ;     Child Loop BB1_184 Depth 2
	;; [unrolled: 1-line block ×9, first 2 shown]
                                        ;       Child Loop BB1_205 Depth 3
                                        ;       Child Loop BB1_212 Depth 3
                                        ;       Child Loop BB1_220 Depth 3
                                        ;       Child Loop BB1_228 Depth 3
                                        ;       Child Loop BB1_236 Depth 3
                                        ;       Child Loop BB1_244 Depth 3
                                        ;       Child Loop BB1_252 Depth 3
                                        ;       Child Loop BB1_260 Depth 3
                                        ;       Child Loop BB1_268 Depth 3
                                        ;       Child Loop BB1_277 Depth 3
                                        ;       Child Loop BB1_282 Depth 3
                                        ;     Child Loop BB1_315 Depth 2
                                        ;     Child Loop BB1_323 Depth 2
	;; [unrolled: 1-line block ×4, first 2 shown]
	s_cmp_eq_u32 s34, 0
	s_cbranch_scc1 .LBB1_173
; %bb.172:                              ;   in Loop: Header=BB1_171 Depth=1
	s_getpc_b64 s[4:5]
	s_add_u32 s4, s4, .str.11@rel32@lo+4
	s_addc_u32 s5, s5, .str.11@rel32@hi+12
	s_mov_b64 s[8:9], s[24:25]
	v_mov_b32_e32 v0, s4
	v_mov_b32_e32 v1, s5
	s_getpc_b64 s[6:7]
	s_add_u32 s6, s6, _ZNK8migraphx13basic_printerIZNS_4coutEvEUlT_E_ElsEPKc@rel32@lo+4
	s_addc_u32 s7, s7, _ZNK8migraphx13basic_printerIZNS_4coutEvEUlT_E_ElsEPKc@rel32@hi+12
	s_swappc_b64 s[30:31], s[6:7]
.LBB1_173:                              ;   in Loop: Header=BB1_171 Depth=1
	s_lshl_b64 s[4:5], s[34:35], 2
	v_mov_b32_e32 v1, s5
	s_waitcnt vmcnt(0) lgkmcnt(0)
	v_add_co_u32_e32 v0, vcc, s4, v52
	v_addc_co_u32_e32 v1, vcc, v53, v1, vcc
	flat_load_dword v24, v[0:1]
	v_readfirstlane_b32 s4, v55
	v_mov_b32_e32 v4, 0
	v_mov_b32_e32 v5, 0
	v_cmp_eq_u32_e64 s[4:5], s4, v55
	s_and_saveexec_b64 s[6:7], s[4:5]
	s_cbranch_execz .LBB1_179
; %bb.174:                              ;   in Loop: Header=BB1_171 Depth=1
	global_load_dwordx2 v[2:3], v38, s[28:29] offset:24 glc
	s_waitcnt vmcnt(0)
	buffer_wbinvl1_vol
	global_load_dwordx2 v[0:1], v38, s[28:29] offset:40
	global_load_dwordx2 v[4:5], v38, s[28:29]
	s_waitcnt vmcnt(0)
	v_and_b32_e32 v0, v0, v2
	v_and_b32_e32 v1, v1, v3
	v_mul_lo_u32 v1, v1, 24
	v_mul_hi_u32 v6, v0, 24
	v_mul_lo_u32 v0, v0, 24
	v_add_u32_e32 v1, v6, v1
	v_add_co_u32_e32 v0, vcc, v4, v0
	v_addc_co_u32_e32 v1, vcc, v5, v1, vcc
	global_load_dwordx2 v[0:1], v[0:1], off glc
	s_waitcnt vmcnt(0)
	global_atomic_cmpswap_x2 v[4:5], v38, v[0:3], s[28:29] offset:24 glc
	s_waitcnt vmcnt(0)
	buffer_wbinvl1_vol
	v_cmp_ne_u64_e32 vcc, v[4:5], v[2:3]
	s_and_saveexec_b64 s[8:9], vcc
	s_cbranch_execz .LBB1_178
; %bb.175:                              ;   in Loop: Header=BB1_171 Depth=1
	s_mov_b64 s[10:11], 0
.LBB1_176:                              ;   Parent Loop BB1_171 Depth=1
                                        ; =>  This Inner Loop Header: Depth=2
	s_sleep 1
	global_load_dwordx2 v[0:1], v38, s[28:29] offset:40
	global_load_dwordx2 v[6:7], v38, s[28:29]
	v_mov_b32_e32 v2, v4
	v_mov_b32_e32 v3, v5
	s_waitcnt vmcnt(0)
	v_and_b32_e32 v0, v0, v2
	v_mad_u64_u32 v[4:5], s[12:13], v0, 24, v[6:7]
	v_and_b32_e32 v1, v1, v3
	v_mov_b32_e32 v0, v5
	v_mad_u64_u32 v[0:1], s[12:13], v1, 24, v[0:1]
	v_mov_b32_e32 v5, v0
	global_load_dwordx2 v[0:1], v[4:5], off glc
	s_waitcnt vmcnt(0)
	global_atomic_cmpswap_x2 v[4:5], v38, v[0:3], s[28:29] offset:24 glc
	s_waitcnt vmcnt(0)
	buffer_wbinvl1_vol
	v_cmp_eq_u64_e32 vcc, v[4:5], v[2:3]
	s_or_b64 s[10:11], vcc, s[10:11]
	s_andn2_b64 exec, exec, s[10:11]
	s_cbranch_execnz .LBB1_176
; %bb.177:                              ;   in Loop: Header=BB1_171 Depth=1
	s_or_b64 exec, exec, s[10:11]
.LBB1_178:                              ;   in Loop: Header=BB1_171 Depth=1
	s_or_b64 exec, exec, s[8:9]
.LBB1_179:                              ;   in Loop: Header=BB1_171 Depth=1
	s_or_b64 exec, exec, s[6:7]
	global_load_dwordx2 v[6:7], v38, s[28:29] offset:40
	global_load_dwordx4 v[0:3], v38, s[28:29]
	v_readfirstlane_b32 s6, v4
	v_readfirstlane_b32 s7, v5
	s_mov_b64 s[8:9], exec
	s_waitcnt vmcnt(0)
	v_readfirstlane_b32 s10, v6
	v_readfirstlane_b32 s11, v7
	s_and_b64 s[10:11], s[6:7], s[10:11]
	s_mul_i32 s12, s11, 24
	s_mul_hi_u32 s13, s10, 24
	s_mul_i32 s14, s10, 24
	s_add_i32 s12, s13, s12
	v_mov_b32_e32 v5, s12
	v_add_co_u32_e32 v4, vcc, s14, v0
	v_addc_co_u32_e32 v5, vcc, v1, v5, vcc
	s_and_saveexec_b64 s[12:13], s[4:5]
	s_cbranch_execz .LBB1_181
; %bb.180:                              ;   in Loop: Header=BB1_171 Depth=1
	v_mov_b32_e32 v49, s9
	v_mov_b32_e32 v48, s8
	global_store_dwordx4 v[4:5], v[48:51], off offset:8
.LBB1_181:                              ;   in Loop: Header=BB1_171 Depth=1
	s_or_b64 exec, exec, s[12:13]
	s_lshl_b64 s[8:9], s[10:11], 12
	v_mov_b32_e32 v6, s9
	v_add_co_u32_e32 v8, vcc, s8, v2
	v_addc_co_u32_e32 v9, vcc, v3, v6, vcc
	v_mov_b32_e32 v10, s36
	v_mov_b32_e32 v37, v38
	;; [unrolled: 1-line block ×3, first 2 shown]
	v_readfirstlane_b32 s8, v8
	v_readfirstlane_b32 s9, v9
	v_mov_b32_e32 v11, s37
	v_mov_b32_e32 v12, s38
	;; [unrolled: 1-line block ×3, first 2 shown]
	s_nop 1
	global_store_dwordx4 v40, v[36:39], s[8:9]
	global_store_dwordx4 v40, v[10:13], s[8:9] offset:16
	global_store_dwordx4 v40, v[10:13], s[8:9] offset:32
	;; [unrolled: 1-line block ×3, first 2 shown]
	s_and_saveexec_b64 s[8:9], s[4:5]
	s_cbranch_execz .LBB1_189
; %bb.182:                              ;   in Loop: Header=BB1_171 Depth=1
	global_load_dwordx2 v[12:13], v38, s[28:29] offset:32 glc
	global_load_dwordx2 v[2:3], v38, s[28:29] offset:40
	v_mov_b32_e32 v10, s6
	v_mov_b32_e32 v11, s7
	s_waitcnt vmcnt(0)
	v_readfirstlane_b32 s10, v2
	v_readfirstlane_b32 s11, v3
	s_and_b64 s[10:11], s[10:11], s[6:7]
	s_mul_i32 s11, s11, 24
	s_mul_hi_u32 s12, s10, 24
	s_mul_i32 s10, s10, 24
	s_add_i32 s11, s12, s11
	v_mov_b32_e32 v2, s11
	v_add_co_u32_e32 v6, vcc, s10, v0
	v_addc_co_u32_e32 v7, vcc, v1, v2, vcc
	global_store_dwordx2 v[6:7], v[12:13], off
	s_waitcnt vmcnt(0)
	global_atomic_cmpswap_x2 v[2:3], v38, v[10:13], s[28:29] offset:32 glc
	s_waitcnt vmcnt(0)
	v_cmp_ne_u64_e32 vcc, v[2:3], v[12:13]
	s_and_saveexec_b64 s[10:11], vcc
	s_cbranch_execz .LBB1_185
; %bb.183:                              ;   in Loop: Header=BB1_171 Depth=1
	s_mov_b64 s[12:13], 0
.LBB1_184:                              ;   Parent Loop BB1_171 Depth=1
                                        ; =>  This Inner Loop Header: Depth=2
	s_sleep 1
	global_store_dwordx2 v[6:7], v[2:3], off
	v_mov_b32_e32 v0, s6
	v_mov_b32_e32 v1, s7
	s_waitcnt vmcnt(0)
	global_atomic_cmpswap_x2 v[0:1], v38, v[0:3], s[28:29] offset:32 glc
	s_waitcnt vmcnt(0)
	v_cmp_eq_u64_e32 vcc, v[0:1], v[2:3]
	v_mov_b32_e32 v3, v1
	s_or_b64 s[12:13], vcc, s[12:13]
	v_mov_b32_e32 v2, v0
	s_andn2_b64 exec, exec, s[12:13]
	s_cbranch_execnz .LBB1_184
.LBB1_185:                              ;   in Loop: Header=BB1_171 Depth=1
	s_or_b64 exec, exec, s[10:11]
	global_load_dwordx2 v[0:1], v38, s[28:29] offset:16
	s_mov_b64 s[12:13], exec
	v_mbcnt_lo_u32_b32 v2, s12, 0
	v_mbcnt_hi_u32_b32 v2, s13, v2
	v_cmp_eq_u32_e32 vcc, 0, v2
	s_and_saveexec_b64 s[10:11], vcc
	s_cbranch_execz .LBB1_187
; %bb.186:                              ;   in Loop: Header=BB1_171 Depth=1
	s_bcnt1_i32_b64 s12, s[12:13]
	v_mov_b32_e32 v37, s12
	s_waitcnt vmcnt(0)
	global_atomic_add_x2 v[0:1], v[37:38], off offset:8
.LBB1_187:                              ;   in Loop: Header=BB1_171 Depth=1
	s_or_b64 exec, exec, s[10:11]
	s_waitcnt vmcnt(0)
	global_load_dwordx2 v[2:3], v[0:1], off offset:16
	s_waitcnt vmcnt(0)
	v_cmp_eq_u64_e32 vcc, 0, v[2:3]
	s_cbranch_vccnz .LBB1_189
; %bb.188:                              ;   in Loop: Header=BB1_171 Depth=1
	global_load_dword v37, v[0:1], off offset:24
	s_waitcnt vmcnt(0)
	v_and_b32_e32 v0, 0xffffff, v37
	v_readfirstlane_b32 m0, v0
	global_store_dwordx2 v[2:3], v[37:38], off
	s_sendmsg sendmsg(MSG_INTERRUPT)
.LBB1_189:                              ;   in Loop: Header=BB1_171 Depth=1
	s_or_b64 exec, exec, s[8:9]
	v_add_co_u32_e32 v0, vcc, v8, v40
	v_addc_co_u32_e32 v1, vcc, 0, v9, vcc
	s_branch .LBB1_193
.LBB1_190:                              ;   in Loop: Header=BB1_193 Depth=2
	s_or_b64 exec, exec, s[8:9]
	v_readfirstlane_b32 s8, v2
	s_cmp_eq_u32 s8, 0
	s_cbranch_scc1 .LBB1_192
; %bb.191:                              ;   in Loop: Header=BB1_193 Depth=2
	s_sleep 1
	s_cbranch_execnz .LBB1_193
	s_branch .LBB1_195
.LBB1_192:                              ;   in Loop: Header=BB1_171 Depth=1
	s_branch .LBB1_195
.LBB1_193:                              ;   Parent Loop BB1_171 Depth=1
                                        ; =>  This Inner Loop Header: Depth=2
	v_mov_b32_e32 v2, 1
	s_and_saveexec_b64 s[8:9], s[4:5]
	s_cbranch_execz .LBB1_190
; %bb.194:                              ;   in Loop: Header=BB1_193 Depth=2
	global_load_dword v2, v[4:5], off offset:20 glc
	s_waitcnt vmcnt(0)
	buffer_wbinvl1_vol
	v_and_b32_e32 v2, 1, v2
	s_branch .LBB1_190
.LBB1_195:                              ;   in Loop: Header=BB1_171 Depth=1
	global_load_dwordx2 v[0:1], v[0:1], off
	s_and_saveexec_b64 s[8:9], s[4:5]
	s_cbranch_execz .LBB1_199
; %bb.196:                              ;   in Loop: Header=BB1_171 Depth=1
	global_load_dwordx2 v[4:5], v38, s[28:29] offset:40
	global_load_dwordx2 v[8:9], v38, s[28:29] offset:24 glc
	global_load_dwordx2 v[6:7], v38, s[28:29]
	v_mov_b32_e32 v3, s7
	s_waitcnt vmcnt(0)
	v_add_co_u32_e32 v10, vcc, 1, v4
	v_addc_co_u32_e32 v11, vcc, 0, v5, vcc
	v_add_co_u32_e32 v2, vcc, s6, v10
	v_addc_co_u32_e32 v3, vcc, v11, v3, vcc
	v_cmp_eq_u64_e32 vcc, 0, v[2:3]
	v_cndmask_b32_e32 v3, v3, v11, vcc
	v_cndmask_b32_e32 v2, v2, v10, vcc
	v_and_b32_e32 v5, v3, v5
	v_and_b32_e32 v4, v2, v4
	v_mul_lo_u32 v5, v5, 24
	v_mul_hi_u32 v10, v4, 24
	v_mul_lo_u32 v11, v4, 24
	v_mov_b32_e32 v4, v8
	v_add_u32_e32 v5, v10, v5
	v_add_co_u32_e32 v6, vcc, v6, v11
	v_addc_co_u32_e32 v7, vcc, v7, v5, vcc
	global_store_dwordx2 v[6:7], v[8:9], off
	v_mov_b32_e32 v5, v9
	s_waitcnt vmcnt(0)
	global_atomic_cmpswap_x2 v[4:5], v38, v[2:5], s[28:29] offset:24 glc
	s_waitcnt vmcnt(0)
	v_cmp_ne_u64_e32 vcc, v[4:5], v[8:9]
	s_and_b64 exec, exec, vcc
	s_cbranch_execz .LBB1_199
; %bb.197:                              ;   in Loop: Header=BB1_171 Depth=1
	s_mov_b64 s[4:5], 0
.LBB1_198:                              ;   Parent Loop BB1_171 Depth=1
                                        ; =>  This Inner Loop Header: Depth=2
	s_sleep 1
	global_store_dwordx2 v[6:7], v[4:5], off
	s_waitcnt vmcnt(0)
	global_atomic_cmpswap_x2 v[8:9], v38, v[2:5], s[28:29] offset:24 glc
	s_waitcnt vmcnt(0)
	v_cmp_eq_u64_e32 vcc, v[8:9], v[4:5]
	v_mov_b32_e32 v4, v8
	s_or_b64 s[4:5], vcc, s[4:5]
	v_mov_b32_e32 v5, v9
	s_andn2_b64 exec, exec, s[4:5]
	s_cbranch_execnz .LBB1_198
.LBB1_199:                              ;   in Loop: Header=BB1_171 Depth=1
	s_or_b64 exec, exec, s[8:9]
	s_and_b64 vcc, exec, s[26:27]
	s_cbranch_vccz .LBB1_284
; %bb.200:                              ;   in Loop: Header=BB1_171 Depth=1
	s_waitcnt vmcnt(0)
	v_and_b32_e32 v25, 2, v0
	v_and_b32_e32 v2, -3, v0
	v_mov_b32_e32 v3, v1
	s_mov_b64 s[8:9], 4
	s_getpc_b64 s[6:7]
	s_add_u32 s6, s6, .str.7@rel32@lo+4
	s_addc_u32 s7, s7, .str.7@rel32@hi+12
	s_branch .LBB1_202
.LBB1_201:                              ;   in Loop: Header=BB1_202 Depth=2
	s_or_b64 exec, exec, s[14:15]
	s_sub_u32 s8, s8, s10
	s_subb_u32 s9, s9, s11
	s_add_u32 s6, s6, s10
	s_addc_u32 s7, s7, s11
	s_cmp_lg_u64 s[8:9], 0
	s_cbranch_scc0 .LBB1_283
.LBB1_202:                              ;   Parent Loop BB1_171 Depth=1
                                        ; =>  This Loop Header: Depth=2
                                        ;       Child Loop BB1_205 Depth 3
                                        ;       Child Loop BB1_212 Depth 3
	;; [unrolled: 1-line block ×11, first 2 shown]
	v_cmp_lt_u64_e64 s[4:5], s[8:9], 56
	v_cmp_gt_u64_e64 s[12:13], s[8:9], 7
	s_and_b64 s[4:5], s[4:5], exec
	s_cselect_b32 s11, s9, 0
	s_cselect_b32 s10, s8, 56
	s_and_b64 vcc, exec, s[12:13]
	s_cbranch_vccnz .LBB1_207
; %bb.203:                              ;   in Loop: Header=BB1_202 Depth=2
	s_waitcnt vmcnt(0)
	v_mov_b32_e32 v4, 0
	s_cmp_eq_u64 s[8:9], 0
	v_mov_b32_e32 v5, 0
	s_mov_b64 s[4:5], 0
	s_cbranch_scc1 .LBB1_206
; %bb.204:                              ;   in Loop: Header=BB1_202 Depth=2
	v_mov_b32_e32 v4, 0
	s_lshl_b64 s[12:13], s[10:11], 3
	s_mov_b64 s[14:15], 0
	v_mov_b32_e32 v5, 0
	s_mov_b64 s[16:17], s[6:7]
.LBB1_205:                              ;   Parent Loop BB1_171 Depth=1
                                        ;     Parent Loop BB1_202 Depth=2
                                        ; =>    This Inner Loop Header: Depth=3
	global_load_ubyte v6, v38, s[16:17]
	s_waitcnt vmcnt(0)
	v_and_b32_e32 v37, 0xffff, v6
	v_lshlrev_b64 v[6:7], s14, v[37:38]
	s_add_u32 s14, s14, 8
	s_addc_u32 s15, s15, 0
	s_add_u32 s16, s16, 1
	s_addc_u32 s17, s17, 0
	v_or_b32_e32 v4, v6, v4
	s_cmp_lg_u32 s12, s14
	v_or_b32_e32 v5, v7, v5
	s_cbranch_scc1 .LBB1_205
.LBB1_206:                              ;   in Loop: Header=BB1_202 Depth=2
	s_mov_b32 s16, 0
	s_andn2_b64 vcc, exec, s[4:5]
	s_mov_b64 s[4:5], s[6:7]
	s_cbranch_vccz .LBB1_208
	s_branch .LBB1_209
.LBB1_207:                              ;   in Loop: Header=BB1_202 Depth=2
                                        ; implicit-def: $vgpr4_vgpr5
                                        ; implicit-def: $sgpr16
	s_mov_b64 s[4:5], s[6:7]
.LBB1_208:                              ;   in Loop: Header=BB1_202 Depth=2
	global_load_dwordx2 v[4:5], v38, s[6:7]
	s_add_i32 s16, s10, -8
	s_add_u32 s4, s6, 8
	s_addc_u32 s5, s7, 0
.LBB1_209:                              ;   in Loop: Header=BB1_202 Depth=2
	s_cmp_gt_u32 s16, 7
	s_cbranch_scc1 .LBB1_213
; %bb.210:                              ;   in Loop: Header=BB1_202 Depth=2
	s_cmp_eq_u32 s16, 0
	s_cbranch_scc1 .LBB1_214
; %bb.211:                              ;   in Loop: Header=BB1_202 Depth=2
	v_mov_b32_e32 v6, 0
	s_mov_b64 s[12:13], 0
	v_mov_b32_e32 v7, 0
	s_mov_b64 s[14:15], 0
.LBB1_212:                              ;   Parent Loop BB1_171 Depth=1
                                        ;     Parent Loop BB1_202 Depth=2
                                        ; =>    This Inner Loop Header: Depth=3
	s_add_u32 s18, s4, s14
	s_addc_u32 s19, s5, s15
	global_load_ubyte v8, v38, s[18:19]
	s_add_u32 s14, s14, 1
	s_addc_u32 s15, s15, 0
	s_waitcnt vmcnt(0)
	v_and_b32_e32 v37, 0xffff, v8
	v_lshlrev_b64 v[8:9], s12, v[37:38]
	s_add_u32 s12, s12, 8
	s_addc_u32 s13, s13, 0
	v_or_b32_e32 v6, v8, v6
	s_cmp_lg_u32 s16, s14
	v_or_b32_e32 v7, v9, v7
	s_cbranch_scc1 .LBB1_212
	s_branch .LBB1_215
.LBB1_213:                              ;   in Loop: Header=BB1_202 Depth=2
                                        ; implicit-def: $vgpr6_vgpr7
                                        ; implicit-def: $sgpr17
	s_branch .LBB1_216
.LBB1_214:                              ;   in Loop: Header=BB1_202 Depth=2
	v_mov_b32_e32 v6, 0
	v_mov_b32_e32 v7, 0
.LBB1_215:                              ;   in Loop: Header=BB1_202 Depth=2
	s_mov_b32 s17, 0
	s_cbranch_execnz .LBB1_217
.LBB1_216:                              ;   in Loop: Header=BB1_202 Depth=2
	global_load_dwordx2 v[6:7], v38, s[4:5]
	s_add_i32 s17, s16, -8
	s_add_u32 s4, s4, 8
	s_addc_u32 s5, s5, 0
.LBB1_217:                              ;   in Loop: Header=BB1_202 Depth=2
	s_cmp_gt_u32 s17, 7
	s_cbranch_scc1 .LBB1_221
; %bb.218:                              ;   in Loop: Header=BB1_202 Depth=2
	s_cmp_eq_u32 s17, 0
	s_cbranch_scc1 .LBB1_222
; %bb.219:                              ;   in Loop: Header=BB1_202 Depth=2
	v_mov_b32_e32 v8, 0
	s_mov_b64 s[12:13], 0
	v_mov_b32_e32 v9, 0
	s_mov_b64 s[14:15], 0
.LBB1_220:                              ;   Parent Loop BB1_171 Depth=1
                                        ;     Parent Loop BB1_202 Depth=2
                                        ; =>    This Inner Loop Header: Depth=3
	s_add_u32 s18, s4, s14
	s_addc_u32 s19, s5, s15
	global_load_ubyte v10, v38, s[18:19]
	s_add_u32 s14, s14, 1
	s_addc_u32 s15, s15, 0
	s_waitcnt vmcnt(0)
	v_and_b32_e32 v37, 0xffff, v10
	v_lshlrev_b64 v[10:11], s12, v[37:38]
	s_add_u32 s12, s12, 8
	s_addc_u32 s13, s13, 0
	v_or_b32_e32 v8, v10, v8
	s_cmp_lg_u32 s17, s14
	v_or_b32_e32 v9, v11, v9
	s_cbranch_scc1 .LBB1_220
	s_branch .LBB1_223
.LBB1_221:                              ;   in Loop: Header=BB1_202 Depth=2
                                        ; implicit-def: $sgpr16
	s_branch .LBB1_224
.LBB1_222:                              ;   in Loop: Header=BB1_202 Depth=2
	v_mov_b32_e32 v8, 0
	v_mov_b32_e32 v9, 0
.LBB1_223:                              ;   in Loop: Header=BB1_202 Depth=2
	s_mov_b32 s16, 0
	s_cbranch_execnz .LBB1_225
.LBB1_224:                              ;   in Loop: Header=BB1_202 Depth=2
	global_load_dwordx2 v[8:9], v38, s[4:5]
	s_add_i32 s16, s17, -8
	s_add_u32 s4, s4, 8
	s_addc_u32 s5, s5, 0
.LBB1_225:                              ;   in Loop: Header=BB1_202 Depth=2
	s_cmp_gt_u32 s16, 7
	s_cbranch_scc1 .LBB1_229
; %bb.226:                              ;   in Loop: Header=BB1_202 Depth=2
	s_cmp_eq_u32 s16, 0
	s_cbranch_scc1 .LBB1_230
; %bb.227:                              ;   in Loop: Header=BB1_202 Depth=2
	v_mov_b32_e32 v10, 0
	s_mov_b64 s[12:13], 0
	v_mov_b32_e32 v11, 0
	s_mov_b64 s[14:15], 0
.LBB1_228:                              ;   Parent Loop BB1_171 Depth=1
                                        ;     Parent Loop BB1_202 Depth=2
                                        ; =>    This Inner Loop Header: Depth=3
	s_add_u32 s18, s4, s14
	s_addc_u32 s19, s5, s15
	global_load_ubyte v12, v38, s[18:19]
	s_add_u32 s14, s14, 1
	s_addc_u32 s15, s15, 0
	s_waitcnt vmcnt(0)
	v_and_b32_e32 v37, 0xffff, v12
	v_lshlrev_b64 v[12:13], s12, v[37:38]
	s_add_u32 s12, s12, 8
	s_addc_u32 s13, s13, 0
	v_or_b32_e32 v10, v12, v10
	s_cmp_lg_u32 s16, s14
	v_or_b32_e32 v11, v13, v11
	s_cbranch_scc1 .LBB1_228
	s_branch .LBB1_231
.LBB1_229:                              ;   in Loop: Header=BB1_202 Depth=2
                                        ; implicit-def: $vgpr10_vgpr11
                                        ; implicit-def: $sgpr17
	s_branch .LBB1_232
.LBB1_230:                              ;   in Loop: Header=BB1_202 Depth=2
	v_mov_b32_e32 v10, 0
	v_mov_b32_e32 v11, 0
.LBB1_231:                              ;   in Loop: Header=BB1_202 Depth=2
	s_mov_b32 s17, 0
	s_cbranch_execnz .LBB1_233
.LBB1_232:                              ;   in Loop: Header=BB1_202 Depth=2
	global_load_dwordx2 v[10:11], v38, s[4:5]
	s_add_i32 s17, s16, -8
	s_add_u32 s4, s4, 8
	s_addc_u32 s5, s5, 0
.LBB1_233:                              ;   in Loop: Header=BB1_202 Depth=2
	s_cmp_gt_u32 s17, 7
	s_cbranch_scc1 .LBB1_237
; %bb.234:                              ;   in Loop: Header=BB1_202 Depth=2
	s_cmp_eq_u32 s17, 0
	s_cbranch_scc1 .LBB1_238
; %bb.235:                              ;   in Loop: Header=BB1_202 Depth=2
	v_mov_b32_e32 v12, 0
	s_mov_b64 s[12:13], 0
	v_mov_b32_e32 v13, 0
	s_mov_b64 s[14:15], 0
.LBB1_236:                              ;   Parent Loop BB1_171 Depth=1
                                        ;     Parent Loop BB1_202 Depth=2
                                        ; =>    This Inner Loop Header: Depth=3
	s_add_u32 s18, s4, s14
	s_addc_u32 s19, s5, s15
	global_load_ubyte v14, v38, s[18:19]
	s_add_u32 s14, s14, 1
	s_addc_u32 s15, s15, 0
	s_waitcnt vmcnt(0)
	v_and_b32_e32 v37, 0xffff, v14
	v_lshlrev_b64 v[14:15], s12, v[37:38]
	s_add_u32 s12, s12, 8
	s_addc_u32 s13, s13, 0
	v_or_b32_e32 v12, v14, v12
	s_cmp_lg_u32 s17, s14
	v_or_b32_e32 v13, v15, v13
	s_cbranch_scc1 .LBB1_236
	s_branch .LBB1_239
.LBB1_237:                              ;   in Loop: Header=BB1_202 Depth=2
                                        ; implicit-def: $sgpr16
	s_branch .LBB1_240
.LBB1_238:                              ;   in Loop: Header=BB1_202 Depth=2
	v_mov_b32_e32 v12, 0
	v_mov_b32_e32 v13, 0
.LBB1_239:                              ;   in Loop: Header=BB1_202 Depth=2
	s_mov_b32 s16, 0
	s_cbranch_execnz .LBB1_241
.LBB1_240:                              ;   in Loop: Header=BB1_202 Depth=2
	global_load_dwordx2 v[12:13], v38, s[4:5]
	s_add_i32 s16, s17, -8
	s_add_u32 s4, s4, 8
	s_addc_u32 s5, s5, 0
.LBB1_241:                              ;   in Loop: Header=BB1_202 Depth=2
	s_cmp_gt_u32 s16, 7
	s_cbranch_scc1 .LBB1_245
; %bb.242:                              ;   in Loop: Header=BB1_202 Depth=2
	s_cmp_eq_u32 s16, 0
	s_cbranch_scc1 .LBB1_246
; %bb.243:                              ;   in Loop: Header=BB1_202 Depth=2
	v_mov_b32_e32 v14, 0
	s_mov_b64 s[12:13], 0
	v_mov_b32_e32 v15, 0
	s_mov_b64 s[14:15], 0
.LBB1_244:                              ;   Parent Loop BB1_171 Depth=1
                                        ;     Parent Loop BB1_202 Depth=2
                                        ; =>    This Inner Loop Header: Depth=3
	s_add_u32 s18, s4, s14
	s_addc_u32 s19, s5, s15
	global_load_ubyte v16, v38, s[18:19]
	s_add_u32 s14, s14, 1
	s_addc_u32 s15, s15, 0
	s_waitcnt vmcnt(0)
	v_and_b32_e32 v37, 0xffff, v16
	v_lshlrev_b64 v[16:17], s12, v[37:38]
	s_add_u32 s12, s12, 8
	s_addc_u32 s13, s13, 0
	v_or_b32_e32 v14, v16, v14
	s_cmp_lg_u32 s16, s14
	v_or_b32_e32 v15, v17, v15
	s_cbranch_scc1 .LBB1_244
	s_branch .LBB1_247
.LBB1_245:                              ;   in Loop: Header=BB1_202 Depth=2
                                        ; implicit-def: $vgpr14_vgpr15
                                        ; implicit-def: $sgpr17
	s_branch .LBB1_248
.LBB1_246:                              ;   in Loop: Header=BB1_202 Depth=2
	v_mov_b32_e32 v14, 0
	v_mov_b32_e32 v15, 0
.LBB1_247:                              ;   in Loop: Header=BB1_202 Depth=2
	s_mov_b32 s17, 0
	s_cbranch_execnz .LBB1_249
.LBB1_248:                              ;   in Loop: Header=BB1_202 Depth=2
	global_load_dwordx2 v[14:15], v38, s[4:5]
	s_add_i32 s17, s16, -8
	s_add_u32 s4, s4, 8
	s_addc_u32 s5, s5, 0
.LBB1_249:                              ;   in Loop: Header=BB1_202 Depth=2
	s_cmp_gt_u32 s17, 7
	s_cbranch_scc1 .LBB1_253
; %bb.250:                              ;   in Loop: Header=BB1_202 Depth=2
	s_cmp_eq_u32 s17, 0
	s_cbranch_scc1 .LBB1_254
; %bb.251:                              ;   in Loop: Header=BB1_202 Depth=2
	v_mov_b32_e32 v16, 0
	s_mov_b64 s[12:13], 0
	v_mov_b32_e32 v17, 0
	s_mov_b64 s[14:15], s[4:5]
.LBB1_252:                              ;   Parent Loop BB1_171 Depth=1
                                        ;     Parent Loop BB1_202 Depth=2
                                        ; =>    This Inner Loop Header: Depth=3
	global_load_ubyte v18, v38, s[14:15]
	s_add_i32 s17, s17, -1
	s_waitcnt vmcnt(0)
	v_and_b32_e32 v37, 0xffff, v18
	v_lshlrev_b64 v[18:19], s12, v[37:38]
	s_add_u32 s12, s12, 8
	s_addc_u32 s13, s13, 0
	s_add_u32 s14, s14, 1
	s_addc_u32 s15, s15, 0
	v_or_b32_e32 v16, v18, v16
	s_cmp_lg_u32 s17, 0
	v_or_b32_e32 v17, v19, v17
	s_cbranch_scc1 .LBB1_252
	s_branch .LBB1_255
.LBB1_253:                              ;   in Loop: Header=BB1_202 Depth=2
	s_branch .LBB1_256
.LBB1_254:                              ;   in Loop: Header=BB1_202 Depth=2
	v_mov_b32_e32 v16, 0
	v_mov_b32_e32 v17, 0
.LBB1_255:                              ;   in Loop: Header=BB1_202 Depth=2
	s_cbranch_execnz .LBB1_257
.LBB1_256:                              ;   in Loop: Header=BB1_202 Depth=2
	global_load_dwordx2 v[16:17], v38, s[4:5]
.LBB1_257:                              ;   in Loop: Header=BB1_202 Depth=2
	v_readfirstlane_b32 s4, v55
	v_mov_b32_e32 v22, 0
	v_mov_b32_e32 v23, 0
	v_cmp_eq_u32_e64 s[4:5], s4, v55
	s_and_saveexec_b64 s[12:13], s[4:5]
	s_cbranch_execz .LBB1_263
; %bb.258:                              ;   in Loop: Header=BB1_202 Depth=2
	global_load_dwordx2 v[20:21], v38, s[28:29] offset:24 glc
	s_waitcnt vmcnt(0)
	buffer_wbinvl1_vol
	global_load_dwordx2 v[18:19], v38, s[28:29] offset:40
	global_load_dwordx2 v[22:23], v38, s[28:29]
	s_waitcnt vmcnt(0)
	v_and_b32_e32 v18, v18, v20
	v_and_b32_e32 v19, v19, v21
	v_mul_lo_u32 v19, v19, 24
	v_mul_hi_u32 v26, v18, 24
	v_mul_lo_u32 v18, v18, 24
	v_add_u32_e32 v19, v26, v19
	v_add_co_u32_e32 v18, vcc, v22, v18
	v_addc_co_u32_e32 v19, vcc, v23, v19, vcc
	global_load_dwordx2 v[18:19], v[18:19], off glc
	s_waitcnt vmcnt(0)
	global_atomic_cmpswap_x2 v[22:23], v38, v[18:21], s[28:29] offset:24 glc
	s_waitcnt vmcnt(0)
	buffer_wbinvl1_vol
	v_cmp_ne_u64_e32 vcc, v[22:23], v[20:21]
	s_and_saveexec_b64 s[14:15], vcc
	s_cbranch_execz .LBB1_262
; %bb.259:                              ;   in Loop: Header=BB1_202 Depth=2
	s_mov_b64 s[16:17], 0
.LBB1_260:                              ;   Parent Loop BB1_171 Depth=1
                                        ;     Parent Loop BB1_202 Depth=2
                                        ; =>    This Inner Loop Header: Depth=3
	s_sleep 1
	global_load_dwordx2 v[18:19], v38, s[28:29] offset:40
	global_load_dwordx2 v[26:27], v38, s[28:29]
	v_mov_b32_e32 v20, v22
	v_mov_b32_e32 v21, v23
	s_waitcnt vmcnt(0)
	v_and_b32_e32 v18, v18, v20
	v_mad_u64_u32 v[22:23], s[18:19], v18, 24, v[26:27]
	v_and_b32_e32 v19, v19, v21
	v_mov_b32_e32 v18, v23
	v_mad_u64_u32 v[18:19], s[18:19], v19, 24, v[18:19]
	v_mov_b32_e32 v23, v18
	global_load_dwordx2 v[18:19], v[22:23], off glc
	s_waitcnt vmcnt(0)
	global_atomic_cmpswap_x2 v[22:23], v38, v[18:21], s[28:29] offset:24 glc
	s_waitcnt vmcnt(0)
	buffer_wbinvl1_vol
	v_cmp_eq_u64_e32 vcc, v[22:23], v[20:21]
	s_or_b64 s[16:17], vcc, s[16:17]
	s_andn2_b64 exec, exec, s[16:17]
	s_cbranch_execnz .LBB1_260
; %bb.261:                              ;   in Loop: Header=BB1_202 Depth=2
	s_or_b64 exec, exec, s[16:17]
.LBB1_262:                              ;   in Loop: Header=BB1_202 Depth=2
	s_or_b64 exec, exec, s[14:15]
.LBB1_263:                              ;   in Loop: Header=BB1_202 Depth=2
	s_or_b64 exec, exec, s[12:13]
	global_load_dwordx2 v[26:27], v38, s[28:29] offset:40
	global_load_dwordx4 v[18:21], v38, s[28:29]
	v_readfirstlane_b32 s12, v22
	v_readfirstlane_b32 s13, v23
	s_mov_b64 s[14:15], exec
	s_waitcnt vmcnt(0)
	v_readfirstlane_b32 s16, v26
	v_readfirstlane_b32 s17, v27
	s_and_b64 s[16:17], s[12:13], s[16:17]
	s_mul_i32 s18, s17, 24
	s_mul_hi_u32 s19, s16, 24
	s_mul_i32 s20, s16, 24
	s_add_i32 s18, s19, s18
	v_mov_b32_e32 v23, s18
	v_add_co_u32_e32 v22, vcc, s20, v18
	v_addc_co_u32_e32 v23, vcc, v19, v23, vcc
	s_and_saveexec_b64 s[18:19], s[4:5]
	s_cbranch_execz .LBB1_265
; %bb.264:                              ;   in Loop: Header=BB1_202 Depth=2
	v_mov_b32_e32 v49, s15
	v_mov_b32_e32 v48, s14
	global_store_dwordx4 v[22:23], v[48:51], off offset:8
.LBB1_265:                              ;   in Loop: Header=BB1_202 Depth=2
	s_or_b64 exec, exec, s[18:19]
	s_lshl_b64 s[14:15], s[16:17], 12
	v_mov_b32_e32 v26, s15
	v_add_co_u32_e32 v20, vcc, s14, v20
	v_addc_co_u32_e32 v21, vcc, v21, v26, vcc
	v_cmp_gt_u64_e64 vcc, s[8:9], 56
	v_or_b32_e32 v27, v2, v25
	s_lshl_b32 s14, s10, 2
	v_cndmask_b32_e32 v2, v27, v2, vcc
	s_add_i32 s14, s14, 28
	v_or_b32_e32 v26, 0, v3
	s_and_b32 s14, s14, 0x1e0
	v_and_b32_e32 v2, 0xffffff1f, v2
	v_cndmask_b32_e32 v3, v26, v3, vcc
	v_or_b32_e32 v2, s14, v2
	v_readfirstlane_b32 s14, v20
	v_readfirstlane_b32 s15, v21
	s_nop 4
	global_store_dwordx4 v40, v[2:5], s[14:15]
	global_store_dwordx4 v40, v[6:9], s[14:15] offset:16
	global_store_dwordx4 v40, v[10:13], s[14:15] offset:32
	;; [unrolled: 1-line block ×3, first 2 shown]
	s_and_saveexec_b64 s[14:15], s[4:5]
	s_cbranch_execz .LBB1_273
; %bb.266:                              ;   in Loop: Header=BB1_202 Depth=2
	global_load_dwordx2 v[10:11], v38, s[28:29] offset:32 glc
	global_load_dwordx2 v[2:3], v38, s[28:29] offset:40
	v_mov_b32_e32 v8, s12
	v_mov_b32_e32 v9, s13
	s_waitcnt vmcnt(0)
	v_readfirstlane_b32 s16, v2
	v_readfirstlane_b32 s17, v3
	s_and_b64 s[16:17], s[16:17], s[12:13]
	s_mul_i32 s17, s17, 24
	s_mul_hi_u32 s18, s16, 24
	s_mul_i32 s16, s16, 24
	s_add_i32 s17, s18, s17
	v_mov_b32_e32 v2, s17
	v_add_co_u32_e32 v6, vcc, s16, v18
	v_addc_co_u32_e32 v7, vcc, v19, v2, vcc
	global_store_dwordx2 v[6:7], v[10:11], off
	s_waitcnt vmcnt(0)
	global_atomic_cmpswap_x2 v[4:5], v38, v[8:11], s[28:29] offset:32 glc
	s_waitcnt vmcnt(0)
	v_cmp_ne_u64_e32 vcc, v[4:5], v[10:11]
	s_and_saveexec_b64 s[16:17], vcc
	s_cbranch_execz .LBB1_269
; %bb.267:                              ;   in Loop: Header=BB1_202 Depth=2
	s_mov_b64 s[18:19], 0
.LBB1_268:                              ;   Parent Loop BB1_171 Depth=1
                                        ;     Parent Loop BB1_202 Depth=2
                                        ; =>    This Inner Loop Header: Depth=3
	s_sleep 1
	global_store_dwordx2 v[6:7], v[4:5], off
	v_mov_b32_e32 v2, s12
	v_mov_b32_e32 v3, s13
	s_waitcnt vmcnt(0)
	global_atomic_cmpswap_x2 v[2:3], v38, v[2:5], s[28:29] offset:32 glc
	s_waitcnt vmcnt(0)
	v_cmp_eq_u64_e32 vcc, v[2:3], v[4:5]
	v_mov_b32_e32 v5, v3
	s_or_b64 s[18:19], vcc, s[18:19]
	v_mov_b32_e32 v4, v2
	s_andn2_b64 exec, exec, s[18:19]
	s_cbranch_execnz .LBB1_268
.LBB1_269:                              ;   in Loop: Header=BB1_202 Depth=2
	s_or_b64 exec, exec, s[16:17]
	global_load_dwordx2 v[2:3], v38, s[28:29] offset:16
	s_mov_b64 s[18:19], exec
	v_mbcnt_lo_u32_b32 v4, s18, 0
	v_mbcnt_hi_u32_b32 v4, s19, v4
	v_cmp_eq_u32_e32 vcc, 0, v4
	s_and_saveexec_b64 s[16:17], vcc
	s_cbranch_execz .LBB1_271
; %bb.270:                              ;   in Loop: Header=BB1_202 Depth=2
	s_bcnt1_i32_b64 s18, s[18:19]
	v_mov_b32_e32 v37, s18
	s_waitcnt vmcnt(0)
	global_atomic_add_x2 v[2:3], v[37:38], off offset:8
.LBB1_271:                              ;   in Loop: Header=BB1_202 Depth=2
	s_or_b64 exec, exec, s[16:17]
	s_waitcnt vmcnt(0)
	global_load_dwordx2 v[4:5], v[2:3], off offset:16
	s_waitcnt vmcnt(0)
	v_cmp_eq_u64_e32 vcc, 0, v[4:5]
	s_cbranch_vccnz .LBB1_273
; %bb.272:                              ;   in Loop: Header=BB1_202 Depth=2
	global_load_dword v37, v[2:3], off offset:24
	s_waitcnt vmcnt(0)
	v_and_b32_e32 v2, 0xffffff, v37
	v_readfirstlane_b32 m0, v2
	global_store_dwordx2 v[4:5], v[37:38], off
	s_sendmsg sendmsg(MSG_INTERRUPT)
.LBB1_273:                              ;   in Loop: Header=BB1_202 Depth=2
	s_or_b64 exec, exec, s[14:15]
	v_add_co_u32_e32 v2, vcc, v20, v40
	v_addc_co_u32_e32 v3, vcc, 0, v21, vcc
	s_branch .LBB1_277
.LBB1_274:                              ;   in Loop: Header=BB1_277 Depth=3
	s_or_b64 exec, exec, s[14:15]
	v_readfirstlane_b32 s14, v4
	s_cmp_eq_u32 s14, 0
	s_cbranch_scc1 .LBB1_276
; %bb.275:                              ;   in Loop: Header=BB1_277 Depth=3
	s_sleep 1
	s_cbranch_execnz .LBB1_277
	s_branch .LBB1_279
.LBB1_276:                              ;   in Loop: Header=BB1_202 Depth=2
	s_branch .LBB1_279
.LBB1_277:                              ;   Parent Loop BB1_171 Depth=1
                                        ;     Parent Loop BB1_202 Depth=2
                                        ; =>    This Inner Loop Header: Depth=3
	v_mov_b32_e32 v4, 1
	s_and_saveexec_b64 s[14:15], s[4:5]
	s_cbranch_execz .LBB1_274
; %bb.278:                              ;   in Loop: Header=BB1_277 Depth=3
	global_load_dword v4, v[22:23], off offset:20 glc
	s_waitcnt vmcnt(0)
	buffer_wbinvl1_vol
	v_and_b32_e32 v4, 1, v4
	s_branch .LBB1_274
.LBB1_279:                              ;   in Loop: Header=BB1_202 Depth=2
	global_load_dwordx4 v[2:5], v[2:3], off
	s_and_saveexec_b64 s[14:15], s[4:5]
	s_cbranch_execz .LBB1_201
; %bb.280:                              ;   in Loop: Header=BB1_202 Depth=2
	global_load_dwordx2 v[6:7], v38, s[28:29] offset:40
	global_load_dwordx2 v[10:11], v38, s[28:29] offset:24 glc
	global_load_dwordx2 v[8:9], v38, s[28:29]
	s_waitcnt vmcnt(0)
	v_mov_b32_e32 v5, s13
	v_add_co_u32_e32 v12, vcc, 1, v6
	v_addc_co_u32_e32 v13, vcc, 0, v7, vcc
	v_add_co_u32_e32 v4, vcc, s12, v12
	v_addc_co_u32_e32 v5, vcc, v13, v5, vcc
	v_cmp_eq_u64_e32 vcc, 0, v[4:5]
	v_cndmask_b32_e32 v5, v5, v13, vcc
	v_cndmask_b32_e32 v4, v4, v12, vcc
	v_and_b32_e32 v7, v5, v7
	v_and_b32_e32 v6, v4, v6
	v_mul_lo_u32 v7, v7, 24
	v_mul_hi_u32 v12, v6, 24
	v_mul_lo_u32 v13, v6, 24
	v_mov_b32_e32 v6, v10
	v_add_u32_e32 v7, v12, v7
	v_add_co_u32_e32 v8, vcc, v8, v13
	v_addc_co_u32_e32 v9, vcc, v9, v7, vcc
	global_store_dwordx2 v[8:9], v[10:11], off
	v_mov_b32_e32 v7, v11
	s_waitcnt vmcnt(0)
	global_atomic_cmpswap_x2 v[6:7], v38, v[4:7], s[28:29] offset:24 glc
	s_waitcnt vmcnt(0)
	v_cmp_ne_u64_e32 vcc, v[6:7], v[10:11]
	s_and_b64 exec, exec, vcc
	s_cbranch_execz .LBB1_201
; %bb.281:                              ;   in Loop: Header=BB1_202 Depth=2
	s_mov_b64 s[4:5], 0
.LBB1_282:                              ;   Parent Loop BB1_171 Depth=1
                                        ;     Parent Loop BB1_202 Depth=2
                                        ; =>    This Inner Loop Header: Depth=3
	s_sleep 1
	global_store_dwordx2 v[8:9], v[6:7], off
	s_waitcnt vmcnt(0)
	global_atomic_cmpswap_x2 v[10:11], v38, v[4:7], s[28:29] offset:24 glc
	s_waitcnt vmcnt(0)
	v_cmp_eq_u64_e32 vcc, v[10:11], v[6:7]
	v_mov_b32_e32 v6, v10
	s_or_b64 s[4:5], vcc, s[4:5]
	v_mov_b32_e32 v7, v11
	s_andn2_b64 exec, exec, s[4:5]
	s_cbranch_execnz .LBB1_282
	s_branch .LBB1_201
.LBB1_283:                              ;   in Loop: Header=BB1_171 Depth=1
	s_branch .LBB1_312
.LBB1_284:                              ;   in Loop: Header=BB1_171 Depth=1
                                        ; implicit-def: $vgpr2_vgpr3
	s_cbranch_execz .LBB1_312
; %bb.285:                              ;   in Loop: Header=BB1_171 Depth=1
	v_readfirstlane_b32 s4, v55
	s_waitcnt vmcnt(0)
	v_mov_b32_e32 v2, 0
	v_mov_b32_e32 v3, 0
	v_cmp_eq_u32_e64 s[4:5], s4, v55
	s_and_saveexec_b64 s[6:7], s[4:5]
	s_cbranch_execz .LBB1_291
; %bb.286:                              ;   in Loop: Header=BB1_171 Depth=1
	global_load_dwordx2 v[4:5], v38, s[28:29] offset:24 glc
	s_waitcnt vmcnt(0)
	buffer_wbinvl1_vol
	global_load_dwordx2 v[2:3], v38, s[28:29] offset:40
	global_load_dwordx2 v[6:7], v38, s[28:29]
	s_waitcnt vmcnt(0)
	v_and_b32_e32 v2, v2, v4
	v_and_b32_e32 v3, v3, v5
	v_mul_lo_u32 v3, v3, 24
	v_mul_hi_u32 v8, v2, 24
	v_mul_lo_u32 v2, v2, 24
	v_add_u32_e32 v3, v8, v3
	v_add_co_u32_e32 v2, vcc, v6, v2
	v_addc_co_u32_e32 v3, vcc, v7, v3, vcc
	global_load_dwordx2 v[2:3], v[2:3], off glc
	s_waitcnt vmcnt(0)
	global_atomic_cmpswap_x2 v[2:3], v38, v[2:5], s[28:29] offset:24 glc
	s_waitcnt vmcnt(0)
	buffer_wbinvl1_vol
	v_cmp_ne_u64_e32 vcc, v[2:3], v[4:5]
	s_and_saveexec_b64 s[8:9], vcc
	s_cbranch_execz .LBB1_290
; %bb.287:                              ;   in Loop: Header=BB1_171 Depth=1
	s_mov_b64 s[10:11], 0
.LBB1_288:                              ;   Parent Loop BB1_171 Depth=1
                                        ; =>  This Inner Loop Header: Depth=2
	s_sleep 1
	global_load_dwordx2 v[6:7], v38, s[28:29] offset:40
	global_load_dwordx2 v[8:9], v38, s[28:29]
	v_mov_b32_e32 v5, v3
	v_mov_b32_e32 v4, v2
	s_waitcnt vmcnt(0)
	v_and_b32_e32 v2, v6, v4
	v_mad_u64_u32 v[2:3], s[12:13], v2, 24, v[8:9]
	v_and_b32_e32 v6, v7, v5
	v_mad_u64_u32 v[6:7], s[12:13], v6, 24, v[3:4]
	v_mov_b32_e32 v3, v6
	global_load_dwordx2 v[2:3], v[2:3], off glc
	s_waitcnt vmcnt(0)
	global_atomic_cmpswap_x2 v[2:3], v38, v[2:5], s[28:29] offset:24 glc
	s_waitcnt vmcnt(0)
	buffer_wbinvl1_vol
	v_cmp_eq_u64_e32 vcc, v[2:3], v[4:5]
	s_or_b64 s[10:11], vcc, s[10:11]
	s_andn2_b64 exec, exec, s[10:11]
	s_cbranch_execnz .LBB1_288
; %bb.289:                              ;   in Loop: Header=BB1_171 Depth=1
	s_or_b64 exec, exec, s[10:11]
.LBB1_290:                              ;   in Loop: Header=BB1_171 Depth=1
	s_or_b64 exec, exec, s[8:9]
.LBB1_291:                              ;   in Loop: Header=BB1_171 Depth=1
	s_or_b64 exec, exec, s[6:7]
	global_load_dwordx2 v[8:9], v38, s[28:29] offset:40
	global_load_dwordx4 v[4:7], v38, s[28:29]
	v_readfirstlane_b32 s6, v2
	v_readfirstlane_b32 s7, v3
	s_mov_b64 s[8:9], exec
	s_waitcnt vmcnt(0)
	v_readfirstlane_b32 s10, v8
	v_readfirstlane_b32 s11, v9
	s_and_b64 s[10:11], s[6:7], s[10:11]
	s_mul_i32 s12, s11, 24
	s_mul_hi_u32 s13, s10, 24
	s_mul_i32 s14, s10, 24
	s_add_i32 s12, s13, s12
	v_mov_b32_e32 v2, s12
	v_add_co_u32_e32 v8, vcc, s14, v4
	v_addc_co_u32_e32 v9, vcc, v5, v2, vcc
	s_and_saveexec_b64 s[12:13], s[4:5]
	s_cbranch_execz .LBB1_293
; %bb.292:                              ;   in Loop: Header=BB1_171 Depth=1
	v_mov_b32_e32 v49, s9
	v_mov_b32_e32 v48, s8
	global_store_dwordx4 v[8:9], v[48:51], off offset:8
.LBB1_293:                              ;   in Loop: Header=BB1_171 Depth=1
	s_or_b64 exec, exec, s[12:13]
	s_lshl_b64 s[8:9], s[10:11], 12
	v_mov_b32_e32 v2, s9
	v_add_co_u32_e32 v6, vcc, s8, v6
	v_addc_co_u32_e32 v7, vcc, v7, v2, vcc
	v_and_or_b32 v0, v0, s23, 32
	v_mov_b32_e32 v2, v38
	v_mov_b32_e32 v3, v38
	v_readfirstlane_b32 s8, v6
	v_readfirstlane_b32 s9, v7
	s_nop 4
	global_store_dwordx4 v40, v[0:3], s[8:9]
	s_nop 0
	v_mov_b32_e32 v0, s36
	v_mov_b32_e32 v1, s37
	;; [unrolled: 1-line block ×4, first 2 shown]
	global_store_dwordx4 v40, v[0:3], s[8:9] offset:16
	global_store_dwordx4 v40, v[0:3], s[8:9] offset:32
	;; [unrolled: 1-line block ×3, first 2 shown]
	s_and_saveexec_b64 s[8:9], s[4:5]
	s_cbranch_execz .LBB1_301
; %bb.294:                              ;   in Loop: Header=BB1_171 Depth=1
	global_load_dwordx2 v[12:13], v38, s[28:29] offset:32 glc
	global_load_dwordx2 v[0:1], v38, s[28:29] offset:40
	v_mov_b32_e32 v10, s6
	v_mov_b32_e32 v11, s7
	s_waitcnt vmcnt(0)
	v_readfirstlane_b32 s10, v0
	v_readfirstlane_b32 s11, v1
	s_and_b64 s[10:11], s[10:11], s[6:7]
	s_mul_i32 s11, s11, 24
	s_mul_hi_u32 s12, s10, 24
	s_mul_i32 s10, s10, 24
	s_add_i32 s11, s12, s11
	v_mov_b32_e32 v0, s11
	v_add_co_u32_e32 v4, vcc, s10, v4
	v_addc_co_u32_e32 v5, vcc, v5, v0, vcc
	global_store_dwordx2 v[4:5], v[12:13], off
	s_waitcnt vmcnt(0)
	global_atomic_cmpswap_x2 v[2:3], v38, v[10:13], s[28:29] offset:32 glc
	s_waitcnt vmcnt(0)
	v_cmp_ne_u64_e32 vcc, v[2:3], v[12:13]
	s_and_saveexec_b64 s[10:11], vcc
	s_cbranch_execz .LBB1_297
; %bb.295:                              ;   in Loop: Header=BB1_171 Depth=1
	s_mov_b64 s[12:13], 0
.LBB1_296:                              ;   Parent Loop BB1_171 Depth=1
                                        ; =>  This Inner Loop Header: Depth=2
	s_sleep 1
	global_store_dwordx2 v[4:5], v[2:3], off
	v_mov_b32_e32 v0, s6
	v_mov_b32_e32 v1, s7
	s_waitcnt vmcnt(0)
	global_atomic_cmpswap_x2 v[0:1], v38, v[0:3], s[28:29] offset:32 glc
	s_waitcnt vmcnt(0)
	v_cmp_eq_u64_e32 vcc, v[0:1], v[2:3]
	v_mov_b32_e32 v3, v1
	s_or_b64 s[12:13], vcc, s[12:13]
	v_mov_b32_e32 v2, v0
	s_andn2_b64 exec, exec, s[12:13]
	s_cbranch_execnz .LBB1_296
.LBB1_297:                              ;   in Loop: Header=BB1_171 Depth=1
	s_or_b64 exec, exec, s[10:11]
	global_load_dwordx2 v[0:1], v38, s[28:29] offset:16
	s_mov_b64 s[12:13], exec
	v_mbcnt_lo_u32_b32 v2, s12, 0
	v_mbcnt_hi_u32_b32 v2, s13, v2
	v_cmp_eq_u32_e32 vcc, 0, v2
	s_and_saveexec_b64 s[10:11], vcc
	s_cbranch_execz .LBB1_299
; %bb.298:                              ;   in Loop: Header=BB1_171 Depth=1
	s_bcnt1_i32_b64 s12, s[12:13]
	v_mov_b32_e32 v37, s12
	s_waitcnt vmcnt(0)
	global_atomic_add_x2 v[0:1], v[37:38], off offset:8
.LBB1_299:                              ;   in Loop: Header=BB1_171 Depth=1
	s_or_b64 exec, exec, s[10:11]
	s_waitcnt vmcnt(0)
	global_load_dwordx2 v[2:3], v[0:1], off offset:16
	s_waitcnt vmcnt(0)
	v_cmp_eq_u64_e32 vcc, 0, v[2:3]
	s_cbranch_vccnz .LBB1_301
; %bb.300:                              ;   in Loop: Header=BB1_171 Depth=1
	global_load_dword v37, v[0:1], off offset:24
	s_waitcnt vmcnt(0)
	v_and_b32_e32 v0, 0xffffff, v37
	v_readfirstlane_b32 m0, v0
	global_store_dwordx2 v[2:3], v[37:38], off
	s_sendmsg sendmsg(MSG_INTERRUPT)
.LBB1_301:                              ;   in Loop: Header=BB1_171 Depth=1
	s_or_b64 exec, exec, s[8:9]
	v_add_co_u32_e32 v0, vcc, v6, v40
	v_addc_co_u32_e32 v1, vcc, 0, v7, vcc
	s_branch .LBB1_305
.LBB1_302:                              ;   in Loop: Header=BB1_305 Depth=2
	s_or_b64 exec, exec, s[8:9]
	v_readfirstlane_b32 s8, v2
	s_cmp_eq_u32 s8, 0
	s_cbranch_scc1 .LBB1_304
; %bb.303:                              ;   in Loop: Header=BB1_305 Depth=2
	s_sleep 1
	s_cbranch_execnz .LBB1_305
	s_branch .LBB1_307
.LBB1_304:                              ;   in Loop: Header=BB1_171 Depth=1
	s_branch .LBB1_307
.LBB1_305:                              ;   Parent Loop BB1_171 Depth=1
                                        ; =>  This Inner Loop Header: Depth=2
	v_mov_b32_e32 v2, 1
	s_and_saveexec_b64 s[8:9], s[4:5]
	s_cbranch_execz .LBB1_302
; %bb.306:                              ;   in Loop: Header=BB1_305 Depth=2
	global_load_dword v2, v[8:9], off offset:20 glc
	s_waitcnt vmcnt(0)
	buffer_wbinvl1_vol
	v_and_b32_e32 v2, 1, v2
	s_branch .LBB1_302
.LBB1_307:                              ;   in Loop: Header=BB1_171 Depth=1
	global_load_dwordx2 v[2:3], v[0:1], off
	s_and_saveexec_b64 s[8:9], s[4:5]
	s_cbranch_execz .LBB1_311
; %bb.308:                              ;   in Loop: Header=BB1_171 Depth=1
	global_load_dwordx2 v[0:1], v38, s[28:29] offset:40
	global_load_dwordx2 v[8:9], v38, s[28:29] offset:24 glc
	global_load_dwordx2 v[10:11], v38, s[28:29]
	v_mov_b32_e32 v5, s7
	s_waitcnt vmcnt(0)
	v_add_co_u32_e32 v6, vcc, 1, v0
	v_addc_co_u32_e32 v7, vcc, 0, v1, vcc
	v_add_co_u32_e32 v4, vcc, s6, v6
	v_addc_co_u32_e32 v5, vcc, v7, v5, vcc
	v_cmp_eq_u64_e32 vcc, 0, v[4:5]
	v_cndmask_b32_e32 v5, v5, v7, vcc
	v_cndmask_b32_e32 v4, v4, v6, vcc
	v_and_b32_e32 v1, v5, v1
	v_and_b32_e32 v0, v4, v0
	v_mul_lo_u32 v1, v1, 24
	v_mul_hi_u32 v7, v0, 24
	v_mul_lo_u32 v0, v0, 24
	v_mov_b32_e32 v6, v8
	v_add_u32_e32 v1, v7, v1
	v_add_co_u32_e32 v0, vcc, v10, v0
	v_addc_co_u32_e32 v1, vcc, v11, v1, vcc
	global_store_dwordx2 v[0:1], v[8:9], off
	v_mov_b32_e32 v7, v9
	s_waitcnt vmcnt(0)
	global_atomic_cmpswap_x2 v[6:7], v38, v[4:7], s[28:29] offset:24 glc
	s_waitcnt vmcnt(0)
	v_cmp_ne_u64_e32 vcc, v[6:7], v[8:9]
	s_and_b64 exec, exec, vcc
	s_cbranch_execz .LBB1_311
; %bb.309:                              ;   in Loop: Header=BB1_171 Depth=1
	s_mov_b64 s[4:5], 0
.LBB1_310:                              ;   Parent Loop BB1_171 Depth=1
                                        ; =>  This Inner Loop Header: Depth=2
	s_sleep 1
	global_store_dwordx2 v[0:1], v[6:7], off
	s_waitcnt vmcnt(0)
	global_atomic_cmpswap_x2 v[8:9], v38, v[4:7], s[28:29] offset:24 glc
	s_waitcnt vmcnt(0)
	v_cmp_eq_u64_e32 vcc, v[8:9], v[6:7]
	v_mov_b32_e32 v6, v8
	s_or_b64 s[4:5], vcc, s[4:5]
	v_mov_b32_e32 v7, v9
	s_andn2_b64 exec, exec, s[4:5]
	s_cbranch_execnz .LBB1_310
.LBB1_311:                              ;   in Loop: Header=BB1_171 Depth=1
	s_or_b64 exec, exec, s[8:9]
.LBB1_312:                              ;   in Loop: Header=BB1_171 Depth=1
	v_readfirstlane_b32 s4, v55
	s_waitcnt vmcnt(0)
	v_mov_b32_e32 v0, 0
	v_mov_b32_e32 v1, 0
	v_cmp_eq_u32_e64 s[4:5], s4, v55
	s_and_saveexec_b64 s[6:7], s[4:5]
	s_cbranch_execz .LBB1_318
; %bb.313:                              ;   in Loop: Header=BB1_171 Depth=1
	global_load_dwordx2 v[6:7], v38, s[28:29] offset:24 glc
	s_waitcnt vmcnt(0)
	buffer_wbinvl1_vol
	global_load_dwordx2 v[0:1], v38, s[28:29] offset:40
	global_load_dwordx2 v[4:5], v38, s[28:29]
	s_waitcnt vmcnt(0)
	v_and_b32_e32 v0, v0, v6
	v_and_b32_e32 v1, v1, v7
	v_mul_lo_u32 v1, v1, 24
	v_mul_hi_u32 v8, v0, 24
	v_mul_lo_u32 v0, v0, 24
	v_add_u32_e32 v1, v8, v1
	v_add_co_u32_e32 v0, vcc, v4, v0
	v_addc_co_u32_e32 v1, vcc, v5, v1, vcc
	global_load_dwordx2 v[4:5], v[0:1], off glc
	s_waitcnt vmcnt(0)
	global_atomic_cmpswap_x2 v[0:1], v38, v[4:7], s[28:29] offset:24 glc
	s_waitcnt vmcnt(0)
	buffer_wbinvl1_vol
	v_cmp_ne_u64_e32 vcc, v[0:1], v[6:7]
	s_and_saveexec_b64 s[8:9], vcc
	s_cbranch_execz .LBB1_317
; %bb.314:                              ;   in Loop: Header=BB1_171 Depth=1
	s_mov_b64 s[10:11], 0
.LBB1_315:                              ;   Parent Loop BB1_171 Depth=1
                                        ; =>  This Inner Loop Header: Depth=2
	s_sleep 1
	global_load_dwordx2 v[4:5], v38, s[28:29] offset:40
	global_load_dwordx2 v[8:9], v38, s[28:29]
	v_mov_b32_e32 v7, v1
	v_mov_b32_e32 v6, v0
	s_waitcnt vmcnt(0)
	v_and_b32_e32 v0, v4, v6
	v_mad_u64_u32 v[0:1], s[12:13], v0, 24, v[8:9]
	v_and_b32_e32 v4, v5, v7
	v_mad_u64_u32 v[4:5], s[12:13], v4, 24, v[1:2]
	v_mov_b32_e32 v1, v4
	global_load_dwordx2 v[4:5], v[0:1], off glc
	s_waitcnt vmcnt(0)
	global_atomic_cmpswap_x2 v[0:1], v38, v[4:7], s[28:29] offset:24 glc
	s_waitcnt vmcnt(0)
	buffer_wbinvl1_vol
	v_cmp_eq_u64_e32 vcc, v[0:1], v[6:7]
	s_or_b64 s[10:11], vcc, s[10:11]
	s_andn2_b64 exec, exec, s[10:11]
	s_cbranch_execnz .LBB1_315
; %bb.316:                              ;   in Loop: Header=BB1_171 Depth=1
	s_or_b64 exec, exec, s[10:11]
.LBB1_317:                              ;   in Loop: Header=BB1_171 Depth=1
	s_or_b64 exec, exec, s[8:9]
.LBB1_318:                              ;   in Loop: Header=BB1_171 Depth=1
	s_or_b64 exec, exec, s[6:7]
	global_load_dwordx2 v[4:5], v38, s[28:29] offset:40
	global_load_dwordx4 v[6:9], v38, s[28:29]
	v_readfirstlane_b32 s6, v0
	v_readfirstlane_b32 s7, v1
	s_mov_b64 s[8:9], exec
	s_waitcnt vmcnt(0)
	v_readfirstlane_b32 s10, v4
	v_readfirstlane_b32 s11, v5
	s_and_b64 s[10:11], s[6:7], s[10:11]
	s_mul_i32 s12, s11, 24
	s_mul_hi_u32 s13, s10, 24
	s_mul_i32 s14, s10, 24
	s_add_i32 s12, s13, s12
	v_mov_b32_e32 v0, s12
	v_add_co_u32_e32 v10, vcc, s14, v6
	v_addc_co_u32_e32 v11, vcc, v7, v0, vcc
	s_and_saveexec_b64 s[12:13], s[4:5]
	s_cbranch_execz .LBB1_320
; %bb.319:                              ;   in Loop: Header=BB1_171 Depth=1
	v_mov_b32_e32 v49, s9
	v_mov_b32_e32 v48, s8
	global_store_dwordx4 v[10:11], v[48:51], off offset:8
.LBB1_320:                              ;   in Loop: Header=BB1_171 Depth=1
	s_or_b64 exec, exec, s[12:13]
	s_lshl_b64 s[8:9], s[10:11], 12
	v_mov_b32_e32 v0, s9
	v_add_co_u32_e32 v1, vcc, s8, v8
	v_addc_co_u32_e32 v0, vcc, v9, v0, vcc
	v_and_or_b32 v2, v2, s40, 34
	s_waitcnt lgkmcnt(0)
	v_ashrrev_i32_e32 v5, 31, v24
	v_mov_b32_e32 v4, v24
	v_readfirstlane_b32 s8, v1
	v_readfirstlane_b32 s9, v0
	s_nop 4
	global_store_dwordx4 v40, v[2:5], s[8:9]
	v_mov_b32_e32 v0, s36
	v_mov_b32_e32 v1, s37
	;; [unrolled: 1-line block ×4, first 2 shown]
	global_store_dwordx4 v40, v[0:3], s[8:9] offset:16
	global_store_dwordx4 v40, v[0:3], s[8:9] offset:32
	;; [unrolled: 1-line block ×3, first 2 shown]
	s_and_saveexec_b64 s[8:9], s[4:5]
	s_cbranch_execz .LBB1_328
; %bb.321:                              ;   in Loop: Header=BB1_171 Depth=1
	global_load_dwordx2 v[14:15], v38, s[28:29] offset:32 glc
	global_load_dwordx2 v[0:1], v38, s[28:29] offset:40
	v_mov_b32_e32 v12, s6
	v_mov_b32_e32 v13, s7
	s_waitcnt vmcnt(0)
	v_readfirstlane_b32 s10, v0
	v_readfirstlane_b32 s11, v1
	s_and_b64 s[10:11], s[10:11], s[6:7]
	s_mul_i32 s11, s11, 24
	s_mul_hi_u32 s12, s10, 24
	s_mul_i32 s10, s10, 24
	s_add_i32 s11, s12, s11
	v_mov_b32_e32 v0, s11
	v_add_co_u32_e32 v4, vcc, s10, v6
	v_addc_co_u32_e32 v5, vcc, v7, v0, vcc
	global_store_dwordx2 v[4:5], v[14:15], off
	s_waitcnt vmcnt(0)
	global_atomic_cmpswap_x2 v[2:3], v38, v[12:15], s[28:29] offset:32 glc
	s_waitcnt vmcnt(0)
	v_cmp_ne_u64_e32 vcc, v[2:3], v[14:15]
	s_and_saveexec_b64 s[10:11], vcc
	s_cbranch_execz .LBB1_324
; %bb.322:                              ;   in Loop: Header=BB1_171 Depth=1
	s_mov_b64 s[12:13], 0
.LBB1_323:                              ;   Parent Loop BB1_171 Depth=1
                                        ; =>  This Inner Loop Header: Depth=2
	s_sleep 1
	global_store_dwordx2 v[4:5], v[2:3], off
	v_mov_b32_e32 v0, s6
	v_mov_b32_e32 v1, s7
	s_waitcnt vmcnt(0)
	global_atomic_cmpswap_x2 v[0:1], v38, v[0:3], s[28:29] offset:32 glc
	s_waitcnt vmcnt(0)
	v_cmp_eq_u64_e32 vcc, v[0:1], v[2:3]
	v_mov_b32_e32 v3, v1
	s_or_b64 s[12:13], vcc, s[12:13]
	v_mov_b32_e32 v2, v0
	s_andn2_b64 exec, exec, s[12:13]
	s_cbranch_execnz .LBB1_323
.LBB1_324:                              ;   in Loop: Header=BB1_171 Depth=1
	s_or_b64 exec, exec, s[10:11]
	global_load_dwordx2 v[0:1], v38, s[28:29] offset:16
	s_mov_b64 s[12:13], exec
	v_mbcnt_lo_u32_b32 v2, s12, 0
	v_mbcnt_hi_u32_b32 v2, s13, v2
	v_cmp_eq_u32_e32 vcc, 0, v2
	s_and_saveexec_b64 s[10:11], vcc
	s_cbranch_execz .LBB1_326
; %bb.325:                              ;   in Loop: Header=BB1_171 Depth=1
	s_bcnt1_i32_b64 s12, s[12:13]
	v_mov_b32_e32 v37, s12
	s_waitcnt vmcnt(0)
	global_atomic_add_x2 v[0:1], v[37:38], off offset:8
.LBB1_326:                              ;   in Loop: Header=BB1_171 Depth=1
	s_or_b64 exec, exec, s[10:11]
	s_waitcnt vmcnt(0)
	global_load_dwordx2 v[2:3], v[0:1], off offset:16
	s_waitcnt vmcnt(0)
	v_cmp_eq_u64_e32 vcc, 0, v[2:3]
	s_cbranch_vccnz .LBB1_328
; %bb.327:                              ;   in Loop: Header=BB1_171 Depth=1
	global_load_dword v37, v[0:1], off offset:24
	s_waitcnt vmcnt(0)
	v_and_b32_e32 v0, 0xffffff, v37
	v_readfirstlane_b32 m0, v0
	global_store_dwordx2 v[2:3], v[37:38], off
	s_sendmsg sendmsg(MSG_INTERRUPT)
.LBB1_328:                              ;   in Loop: Header=BB1_171 Depth=1
	s_or_b64 exec, exec, s[8:9]
	s_branch .LBB1_332
.LBB1_329:                              ;   in Loop: Header=BB1_332 Depth=2
	s_or_b64 exec, exec, s[8:9]
	v_readfirstlane_b32 s8, v0
	s_cmp_eq_u32 s8, 0
	s_cbranch_scc1 .LBB1_331
; %bb.330:                              ;   in Loop: Header=BB1_332 Depth=2
	s_sleep 1
	s_cbranch_execnz .LBB1_332
	s_branch .LBB1_334
.LBB1_331:                              ;   in Loop: Header=BB1_171 Depth=1
	s_branch .LBB1_334
.LBB1_332:                              ;   Parent Loop BB1_171 Depth=1
                                        ; =>  This Inner Loop Header: Depth=2
	v_mov_b32_e32 v0, 1
	s_and_saveexec_b64 s[8:9], s[4:5]
	s_cbranch_execz .LBB1_329
; %bb.333:                              ;   in Loop: Header=BB1_332 Depth=2
	global_load_dword v0, v[10:11], off offset:20 glc
	s_waitcnt vmcnt(0)
	buffer_wbinvl1_vol
	v_and_b32_e32 v0, 1, v0
	s_branch .LBB1_329
.LBB1_334:                              ;   in Loop: Header=BB1_171 Depth=1
	s_and_saveexec_b64 s[8:9], s[4:5]
	s_cbranch_execz .LBB1_170
; %bb.335:                              ;   in Loop: Header=BB1_171 Depth=1
	global_load_dwordx2 v[2:3], v38, s[28:29] offset:40
	global_load_dwordx2 v[6:7], v38, s[28:29] offset:24 glc
	global_load_dwordx2 v[4:5], v38, s[28:29]
	v_mov_b32_e32 v1, s7
	s_waitcnt vmcnt(2)
	v_add_co_u32_e32 v8, vcc, 1, v2
	v_addc_co_u32_e32 v9, vcc, 0, v3, vcc
	v_add_co_u32_e32 v0, vcc, s6, v8
	v_addc_co_u32_e32 v1, vcc, v9, v1, vcc
	v_cmp_eq_u64_e32 vcc, 0, v[0:1]
	v_cndmask_b32_e32 v1, v1, v9, vcc
	v_cndmask_b32_e32 v0, v0, v8, vcc
	v_and_b32_e32 v3, v1, v3
	v_and_b32_e32 v2, v0, v2
	v_mul_lo_u32 v3, v3, 24
	v_mul_hi_u32 v8, v2, 24
	v_mul_lo_u32 v9, v2, 24
	s_waitcnt vmcnt(1)
	v_mov_b32_e32 v2, v6
	v_add_u32_e32 v3, v8, v3
	s_waitcnt vmcnt(0)
	v_add_co_u32_e32 v4, vcc, v4, v9
	v_addc_co_u32_e32 v5, vcc, v5, v3, vcc
	global_store_dwordx2 v[4:5], v[6:7], off
	v_mov_b32_e32 v3, v7
	s_waitcnt vmcnt(0)
	global_atomic_cmpswap_x2 v[2:3], v38, v[0:3], s[28:29] offset:24 glc
	s_waitcnt vmcnt(0)
	v_cmp_ne_u64_e32 vcc, v[2:3], v[6:7]
	s_and_b64 exec, exec, vcc
	s_cbranch_execz .LBB1_170
; %bb.336:                              ;   in Loop: Header=BB1_171 Depth=1
	s_mov_b64 s[4:5], 0
.LBB1_337:                              ;   Parent Loop BB1_171 Depth=1
                                        ; =>  This Inner Loop Header: Depth=2
	s_sleep 1
	global_store_dwordx2 v[4:5], v[2:3], off
	s_waitcnt vmcnt(0)
	global_atomic_cmpswap_x2 v[6:7], v38, v[0:3], s[28:29] offset:24 glc
	s_waitcnt vmcnt(0)
	v_cmp_eq_u64_e32 vcc, v[6:7], v[2:3]
	v_mov_b32_e32 v2, v6
	s_or_b64 s[4:5], vcc, s[4:5]
	v_mov_b32_e32 v3, v7
	s_andn2_b64 exec, exec, s[4:5]
	s_cbranch_execnz .LBB1_337
	s_branch .LBB1_170
.LBB1_338:
	v_readlane_b32 s30, v41, 0
	v_readlane_b32 s31, v41, 1
	;; [unrolled: 1-line block ×3, first 2 shown]
	s_or_saveexec_b64 s[6:7], -1
	buffer_load_dword v41, off, s[0:3], s33 ; 4-byte Folded Reload
	s_mov_b64 exec, s[6:7]
	s_addk_i32 s32, 0xfc00
	s_mov_b32 s33, s4
	s_waitcnt vmcnt(0) lgkmcnt(0)
	s_setpc_b64 s[30:31]
.Lfunc_end1:
	.size	_ZN8migraphx4testlsIKNS_13basic_printerIZNS_4coutEvEUlT_E_EEEERS3_S7_RKNS0_10expressionINS0_14lhs_expressionIRNS_5arrayIiLj4EEENS0_3nopEEESC_NS0_5equalEEE, .Lfunc_end1-_ZN8migraphx4testlsIKNS_13basic_printerIZNS_4coutEvEUlT_E_EEEERS3_S7_RKNS0_10expressionINS0_14lhs_expressionIRNS_5arrayIiLj4EEENS0_3nopEEESC_NS0_5equalEEE
                                        ; -- End function
	.section	.AMDGPU.csdata,"",@progbits
; Function info:
; codeLenInByte = 11708
; NumSgprs: 45
; NumVgprs: 56
; ScratchSize: 16
; MemoryBound: 0
	.text
	.p2align	2                               ; -- Begin function _ZN8migraphx4test4failEv
	.type	_ZN8migraphx4test4failEv,@function
_ZN8migraphx4test4failEv:               ; @_ZN8migraphx4test4failEv
; %bb.0:
	s_waitcnt vmcnt(0) expcnt(0) lgkmcnt(0)
	v_mov_b32_e32 v0, 0
	global_load_dword v1, v0, s[8:9] offset:18
	global_load_ushort v2, v0, s[8:9] offset:22
	s_load_dwordx2 s[6:7], s[8:9], 0x0
	s_load_dword s10, s[8:9], 0x8
	s_waitcnt vmcnt(1)
	v_cmp_ne_u16_e32 vcc, 0, v1
	s_cmp_lg_u64 vcc, 0
	v_cmp_ne_u16_sdwa s[16:17], v1, v0 src0_sel:WORD_1 src1_sel:DWORD
	s_waitcnt lgkmcnt(0)
	s_addc_u32 s11, s6, 0
	s_cmp_lg_u64 s[16:17], 0
	s_waitcnt vmcnt(0)
	v_cmp_ne_u16_e64 s[4:5], 0, v2
	s_addc_u32 s15, s7, 0
	s_cmp_lg_u64 s[4:5], 0
	s_mul_i32 s11, s15, s11
	s_addc_u32 s4, s10, 0
	s_mul_i32 s11, s11, s4
	s_cmp_lg_u32 s11, 1
	s_cbranch_scc1 .LBB2_3
; %bb.1:
	s_cmp_lt_u32 s14, s10
	s_cselect_b32 s4, 16, 22
	s_add_u32 s4, s8, s4
	s_addc_u32 s5, s9, 0
	s_cmp_lt_u32 s13, s7
	s_cselect_b32 s7, 14, 20
	s_add_u32 s10, s8, s7
	s_addc_u32 s11, s9, 0
	s_cmp_lt_u32 s12, s6
	global_load_ushort v1, v0, s[4:5]
	global_load_ushort v2, v0, s[10:11]
	s_cselect_b32 s4, 12, 18
	s_add_u32 s4, s8, s4
	s_addc_u32 s5, s9, 0
	global_load_ushort v0, v0, s[4:5]
	s_waitcnt vmcnt(1)
	v_mul_lo_u32 v1, v2, v1
	s_waitcnt vmcnt(0)
	v_mul_lo_u32 v0, v1, v0
	v_cmp_lt_u32_e32 vcc, 64, v0
	s_cbranch_vccnz .LBB2_3
; %bb.2:
	s_endpgm
.LBB2_3:
	s_trap 2
.Lfunc_end2:
	.size	_ZN8migraphx4test4failEv, .Lfunc_end2-_ZN8migraphx4test4failEv
                                        ; -- End function
	.section	.AMDGPU.csdata,"",@progbits
; Function info:
; codeLenInByte = 224
; NumSgprs: 22
; NumVgprs: 3
; ScratchSize: 0
; MemoryBound: 0
	.text
	.p2align	2                               ; -- Begin function _ZL19sort_reverse_sortedRN8migraphx4test12test_managerE
	.type	_ZL19sort_reverse_sortedRN8migraphx4test12test_managerE,@function
_ZL19sort_reverse_sortedRN8migraphx4test12test_managerE: ; @_ZL19sort_reverse_sortedRN8migraphx4test12test_managerE
; %bb.0:
	s_waitcnt vmcnt(0) expcnt(0) lgkmcnt(0)
	v_mov_b32_e32 v0, 1
	buffer_store_dword v0, off, s[0:3], s32
	v_mov_b32_e32 v0, 4
	v_mov_b32_e32 v1, 2
	;; [unrolled: 1-line block ×3, first 2 shown]
	buffer_store_dword v0, off, s[0:3], s32 offset:12
	buffer_store_dword v1, off, s[0:3], s32 offset:4
	;; [unrolled: 1-line block ×6, first 2 shown]
	s_waitcnt vmcnt(0)
	s_setpc_b64 s[30:31]
.Lfunc_end3:
	.size	_ZL19sort_reverse_sortedRN8migraphx4test12test_managerE, .Lfunc_end3-_ZL19sort_reverse_sortedRN8migraphx4test12test_managerE
                                        ; -- End function
	.section	.AMDGPU.csdata,"",@progbits
; Function info:
; codeLenInByte = 84
; NumSgprs: 37
; NumVgprs: 3
; ScratchSize: 56
; MemoryBound: 0
	.text
	.p2align	2                               ; -- Begin function _ZN8migraphx4testlsIKNS_13basic_printerIZNS_4coutEvEUlT_E_EEEERS3_S7_RKNS0_10expressionINS0_14lhs_expressionIRNS_5arrayIiLj6EEENS0_3nopEEESC_NS0_5equalEEE
	.type	_ZN8migraphx4testlsIKNS_13basic_printerIZNS_4coutEvEUlT_E_EEEERS3_S7_RKNS0_10expressionINS0_14lhs_expressionIRNS_5arrayIiLj6EEENS0_3nopEEESC_NS0_5equalEEE,@function
_ZN8migraphx4testlsIKNS_13basic_printerIZNS_4coutEvEUlT_E_EEEERS3_S7_RKNS0_10expressionINS0_14lhs_expressionIRNS_5arrayIiLj6EEENS0_3nopEEESC_NS0_5equalEEE: ; @_ZN8migraphx4testlsIKNS_13basic_printerIZNS_4coutEvEUlT_E_EEEERS3_S7_RKNS0_10expressionINS0_14lhs_expressionIRNS_5arrayIiLj6EEENS0_3nopEEESC_NS0_5equalEEE
; %bb.0:
	s_waitcnt vmcnt(0) expcnt(0) lgkmcnt(0)
	s_mov_b32 s4, s33
	s_mov_b32 s33, s32
	s_or_saveexec_b64 s[6:7], -1
	buffer_store_dword v41, off, s[0:3], s33 ; 4-byte Folded Spill
	s_mov_b64 exec, s[6:7]
	v_writelane_b32 v41, s4, 2
	v_writelane_b32 v41, s30, 0
	s_addk_i32 s32, 0x400
	v_writelane_b32 v41, s31, 1
	v_mov_b32_e32 v37, v1
	v_mov_b32_e32 v36, v0
	flat_load_dwordx2 v[38:39], v[36:37]
	s_getpc_b64 s[4:5]
	s_add_u32 s4, s4, .str.7@rel32@lo+4
	s_addc_u32 s5, s5, .str.7@rel32@hi+12
	s_mov_b32 s35, 0
	s_cmp_lg_u64 s[4:5], 0
	v_mbcnt_lo_u32_b32 v0, -1, 0
	s_mov_b64 s[24:25], s[8:9]
	s_cselect_b64 s[26:27], -1, 0
	v_mbcnt_hi_u32_b32 v55, -1, v0
	v_mov_b32_e32 v50, 0
	s_mov_b32 s36, s35
	s_mov_b32 s37, s35
	;; [unrolled: 1-line block ×4, first 2 shown]
	s_movk_i32 s23, 0xff1f
	s_movk_i32 s40, 0xff1d
	v_mov_b32_e32 v53, 2
	v_mov_b32_e32 v54, 1
	;; [unrolled: 1-line block ×3, first 2 shown]
	s_mov_b32 s34, s35
	s_branch .LBB5_2
.LBB5_1:                                ;   in Loop: Header=BB5_2 Depth=1
	s_or_b64 exec, exec, s[8:9]
	s_add_i32 s34, s34, 1
	s_cmp_lg_u32 s34, 6
	s_cbranch_scc0 .LBB5_169
.LBB5_2:                                ; =>This Loop Header: Depth=1
                                        ;     Child Loop BB5_7 Depth 2
                                        ;     Child Loop BB5_15 Depth 2
	;; [unrolled: 1-line block ×9, first 2 shown]
                                        ;       Child Loop BB5_36 Depth 3
                                        ;       Child Loop BB5_43 Depth 3
	;; [unrolled: 1-line block ×11, first 2 shown]
                                        ;     Child Loop BB5_146 Depth 2
                                        ;     Child Loop BB5_154 Depth 2
	;; [unrolled: 1-line block ×4, first 2 shown]
	s_cmp_eq_u32 s34, 0
	s_cbranch_scc1 .LBB5_4
; %bb.3:                                ;   in Loop: Header=BB5_2 Depth=1
	s_getpc_b64 s[4:5]
	s_add_u32 s4, s4, .str.11@rel32@lo+4
	s_addc_u32 s5, s5, .str.11@rel32@hi+12
	s_mov_b64 s[8:9], s[24:25]
	v_mov_b32_e32 v0, s4
	v_mov_b32_e32 v1, s5
	s_getpc_b64 s[6:7]
	s_add_u32 s6, s6, _ZNK8migraphx13basic_printerIZNS_4coutEvEUlT_E_ElsEPKc@rel32@lo+4
	s_addc_u32 s7, s7, _ZNK8migraphx13basic_printerIZNS_4coutEvEUlT_E_ElsEPKc@rel32@hi+12
	s_swappc_b64 s[30:31], s[6:7]
.LBB5_4:                                ;   in Loop: Header=BB5_2 Depth=1
	s_lshl_b64 s[4:5], s[34:35], 2
	v_mov_b32_e32 v1, s5
	s_waitcnt vmcnt(0) lgkmcnt(0)
	v_add_co_u32_e32 v0, vcc, s4, v38
	v_addc_co_u32_e32 v1, vcc, v39, v1, vcc
	flat_load_dword v24, v[0:1]
	s_load_dwordx2 s[28:29], s[24:25], 0x50
	v_readfirstlane_b32 s4, v55
	v_mov_b32_e32 v4, 0
	v_mov_b32_e32 v5, 0
	v_cmp_eq_u32_e64 s[4:5], s4, v55
	s_and_saveexec_b64 s[6:7], s[4:5]
	s_cbranch_execz .LBB5_10
; %bb.5:                                ;   in Loop: Header=BB5_2 Depth=1
	s_waitcnt lgkmcnt(0)
	global_load_dwordx2 v[2:3], v50, s[28:29] offset:24 glc
	s_waitcnt vmcnt(0)
	buffer_wbinvl1_vol
	global_load_dwordx2 v[0:1], v50, s[28:29] offset:40
	global_load_dwordx2 v[4:5], v50, s[28:29]
	s_waitcnt vmcnt(1)
	v_and_b32_e32 v0, v0, v2
	v_and_b32_e32 v1, v1, v3
	v_mul_lo_u32 v1, v1, 24
	v_mul_hi_u32 v6, v0, 24
	v_mul_lo_u32 v0, v0, 24
	v_add_u32_e32 v1, v6, v1
	s_waitcnt vmcnt(0)
	v_add_co_u32_e32 v0, vcc, v4, v0
	v_addc_co_u32_e32 v1, vcc, v5, v1, vcc
	global_load_dwordx2 v[0:1], v[0:1], off glc
	s_waitcnt vmcnt(0)
	global_atomic_cmpswap_x2 v[4:5], v50, v[0:3], s[28:29] offset:24 glc
	s_waitcnt vmcnt(0)
	buffer_wbinvl1_vol
	v_cmp_ne_u64_e32 vcc, v[4:5], v[2:3]
	s_and_saveexec_b64 s[8:9], vcc
	s_cbranch_execz .LBB5_9
; %bb.6:                                ;   in Loop: Header=BB5_2 Depth=1
	s_mov_b64 s[10:11], 0
.LBB5_7:                                ;   Parent Loop BB5_2 Depth=1
                                        ; =>  This Inner Loop Header: Depth=2
	s_sleep 1
	global_load_dwordx2 v[0:1], v50, s[28:29] offset:40
	global_load_dwordx2 v[6:7], v50, s[28:29]
	v_mov_b32_e32 v2, v4
	v_mov_b32_e32 v3, v5
	s_waitcnt vmcnt(1)
	v_and_b32_e32 v0, v0, v2
	s_waitcnt vmcnt(0)
	v_mad_u64_u32 v[4:5], s[12:13], v0, 24, v[6:7]
	v_and_b32_e32 v1, v1, v3
	v_mov_b32_e32 v0, v5
	v_mad_u64_u32 v[0:1], s[12:13], v1, 24, v[0:1]
	v_mov_b32_e32 v5, v0
	global_load_dwordx2 v[0:1], v[4:5], off glc
	s_waitcnt vmcnt(0)
	global_atomic_cmpswap_x2 v[4:5], v50, v[0:3], s[28:29] offset:24 glc
	s_waitcnt vmcnt(0)
	buffer_wbinvl1_vol
	v_cmp_eq_u64_e32 vcc, v[4:5], v[2:3]
	s_or_b64 s[10:11], vcc, s[10:11]
	s_andn2_b64 exec, exec, s[10:11]
	s_cbranch_execnz .LBB5_7
; %bb.8:                                ;   in Loop: Header=BB5_2 Depth=1
	s_or_b64 exec, exec, s[10:11]
.LBB5_9:                                ;   in Loop: Header=BB5_2 Depth=1
	s_or_b64 exec, exec, s[8:9]
.LBB5_10:                               ;   in Loop: Header=BB5_2 Depth=1
	s_or_b64 exec, exec, s[6:7]
	s_waitcnt lgkmcnt(0)
	global_load_dwordx2 v[6:7], v50, s[28:29] offset:40
	global_load_dwordx4 v[0:3], v50, s[28:29]
	v_readfirstlane_b32 s6, v4
	v_readfirstlane_b32 s7, v5
	s_mov_b64 s[8:9], exec
	s_waitcnt vmcnt(0)
	v_readfirstlane_b32 s10, v6
	v_readfirstlane_b32 s11, v7
	s_and_b64 s[10:11], s[6:7], s[10:11]
	s_mul_i32 s12, s11, 24
	s_mul_hi_u32 s13, s10, 24
	s_mul_i32 s14, s10, 24
	s_add_i32 s12, s13, s12
	v_mov_b32_e32 v5, s12
	v_add_co_u32_e32 v4, vcc, s14, v0
	v_addc_co_u32_e32 v5, vcc, v1, v5, vcc
	s_and_saveexec_b64 s[12:13], s[4:5]
	s_cbranch_execz .LBB5_12
; %bb.11:                               ;   in Loop: Header=BB5_2 Depth=1
	v_mov_b32_e32 v52, s9
	v_mov_b32_e32 v51, s8
	global_store_dwordx4 v[4:5], v[51:54], off offset:8
.LBB5_12:                               ;   in Loop: Header=BB5_2 Depth=1
	s_or_b64 exec, exec, s[12:13]
	s_lshl_b64 s[8:9], s[10:11], 12
	v_mov_b32_e32 v6, s9
	v_add_co_u32_e32 v8, vcc, s8, v2
	v_addc_co_u32_e32 v9, vcc, v3, v6, vcc
	v_mov_b32_e32 v10, s36
	v_lshlrev_b32_e32 v40, 6, v55
	v_mov_b32_e32 v49, v50
	v_mov_b32_e32 v51, v50
	v_readfirstlane_b32 s8, v8
	v_readfirstlane_b32 s9, v9
	v_mov_b32_e32 v11, s37
	v_mov_b32_e32 v12, s38
	;; [unrolled: 1-line block ×3, first 2 shown]
	s_nop 1
	global_store_dwordx4 v40, v[48:51], s[8:9]
	global_store_dwordx4 v40, v[10:13], s[8:9] offset:16
	global_store_dwordx4 v40, v[10:13], s[8:9] offset:32
	;; [unrolled: 1-line block ×3, first 2 shown]
	s_and_saveexec_b64 s[8:9], s[4:5]
	s_cbranch_execz .LBB5_20
; %bb.13:                               ;   in Loop: Header=BB5_2 Depth=1
	global_load_dwordx2 v[12:13], v50, s[28:29] offset:32 glc
	global_load_dwordx2 v[2:3], v50, s[28:29] offset:40
	v_mov_b32_e32 v10, s6
	v_mov_b32_e32 v11, s7
	s_waitcnt vmcnt(0)
	v_and_b32_e32 v2, s6, v2
	v_and_b32_e32 v3, s7, v3
	v_mul_lo_u32 v3, v3, 24
	v_mul_hi_u32 v6, v2, 24
	v_mul_lo_u32 v2, v2, 24
	v_add_u32_e32 v3, v6, v3
	v_add_co_u32_e32 v6, vcc, v0, v2
	v_addc_co_u32_e32 v7, vcc, v1, v3, vcc
	global_store_dwordx2 v[6:7], v[12:13], off
	s_waitcnt vmcnt(0)
	global_atomic_cmpswap_x2 v[2:3], v50, v[10:13], s[28:29] offset:32 glc
	s_waitcnt vmcnt(0)
	v_cmp_ne_u64_e32 vcc, v[2:3], v[12:13]
	s_and_saveexec_b64 s[10:11], vcc
	s_cbranch_execz .LBB5_16
; %bb.14:                               ;   in Loop: Header=BB5_2 Depth=1
	s_mov_b64 s[12:13], 0
.LBB5_15:                               ;   Parent Loop BB5_2 Depth=1
                                        ; =>  This Inner Loop Header: Depth=2
	s_sleep 1
	global_store_dwordx2 v[6:7], v[2:3], off
	v_mov_b32_e32 v0, s6
	v_mov_b32_e32 v1, s7
	s_waitcnt vmcnt(0)
	global_atomic_cmpswap_x2 v[0:1], v50, v[0:3], s[28:29] offset:32 glc
	s_waitcnt vmcnt(0)
	v_cmp_eq_u64_e32 vcc, v[0:1], v[2:3]
	v_mov_b32_e32 v3, v1
	s_or_b64 s[12:13], vcc, s[12:13]
	v_mov_b32_e32 v2, v0
	s_andn2_b64 exec, exec, s[12:13]
	s_cbranch_execnz .LBB5_15
.LBB5_16:                               ;   in Loop: Header=BB5_2 Depth=1
	s_or_b64 exec, exec, s[10:11]
	global_load_dwordx2 v[0:1], v50, s[28:29] offset:16
	s_mov_b64 s[12:13], exec
	v_mbcnt_lo_u32_b32 v2, s12, 0
	v_mbcnt_hi_u32_b32 v2, s13, v2
	v_cmp_eq_u32_e32 vcc, 0, v2
	s_and_saveexec_b64 s[10:11], vcc
	s_cbranch_execz .LBB5_18
; %bb.17:                               ;   in Loop: Header=BB5_2 Depth=1
	s_bcnt1_i32_b64 s12, s[12:13]
	v_mov_b32_e32 v49, s12
	s_waitcnt vmcnt(0)
	global_atomic_add_x2 v[0:1], v[49:50], off offset:8
.LBB5_18:                               ;   in Loop: Header=BB5_2 Depth=1
	s_or_b64 exec, exec, s[10:11]
	s_waitcnt vmcnt(0)
	global_load_dwordx2 v[2:3], v[0:1], off offset:16
	s_waitcnt vmcnt(0)
	v_cmp_eq_u64_e32 vcc, 0, v[2:3]
	s_cbranch_vccnz .LBB5_20
; %bb.19:                               ;   in Loop: Header=BB5_2 Depth=1
	global_load_dword v49, v[0:1], off offset:24
	s_waitcnt vmcnt(0)
	v_and_b32_e32 v0, 0xffffff, v49
	v_readfirstlane_b32 m0, v0
	global_store_dwordx2 v[2:3], v[49:50], off
	s_sendmsg sendmsg(MSG_INTERRUPT)
.LBB5_20:                               ;   in Loop: Header=BB5_2 Depth=1
	s_or_b64 exec, exec, s[8:9]
	v_add_co_u32_e32 v0, vcc, v8, v40
	v_addc_co_u32_e32 v1, vcc, 0, v9, vcc
	s_branch .LBB5_24
.LBB5_21:                               ;   in Loop: Header=BB5_24 Depth=2
	s_or_b64 exec, exec, s[8:9]
	v_readfirstlane_b32 s8, v2
	s_cmp_eq_u32 s8, 0
	s_cbranch_scc1 .LBB5_23
; %bb.22:                               ;   in Loop: Header=BB5_24 Depth=2
	s_sleep 1
	s_cbranch_execnz .LBB5_24
	s_branch .LBB5_26
.LBB5_23:                               ;   in Loop: Header=BB5_2 Depth=1
	s_branch .LBB5_26
.LBB5_24:                               ;   Parent Loop BB5_2 Depth=1
                                        ; =>  This Inner Loop Header: Depth=2
	v_mov_b32_e32 v2, 1
	s_and_saveexec_b64 s[8:9], s[4:5]
	s_cbranch_execz .LBB5_21
; %bb.25:                               ;   in Loop: Header=BB5_24 Depth=2
	global_load_dword v2, v[4:5], off offset:20 glc
	s_waitcnt vmcnt(0)
	buffer_wbinvl1_vol
	v_and_b32_e32 v2, 1, v2
	s_branch .LBB5_21
.LBB5_26:                               ;   in Loop: Header=BB5_2 Depth=1
	global_load_dwordx2 v[0:1], v[0:1], off
	s_and_saveexec_b64 s[8:9], s[4:5]
	s_cbranch_execz .LBB5_30
; %bb.27:                               ;   in Loop: Header=BB5_2 Depth=1
	global_load_dwordx2 v[4:5], v50, s[28:29] offset:40
	global_load_dwordx2 v[8:9], v50, s[28:29] offset:24 glc
	global_load_dwordx2 v[6:7], v50, s[28:29]
	v_mov_b32_e32 v3, s7
	s_waitcnt vmcnt(2)
	v_add_co_u32_e32 v10, vcc, 1, v4
	v_addc_co_u32_e32 v11, vcc, 0, v5, vcc
	v_add_co_u32_e32 v2, vcc, s6, v10
	v_addc_co_u32_e32 v3, vcc, v11, v3, vcc
	v_cmp_eq_u64_e32 vcc, 0, v[2:3]
	v_cndmask_b32_e32 v3, v3, v11, vcc
	v_cndmask_b32_e32 v2, v2, v10, vcc
	v_and_b32_e32 v5, v3, v5
	v_and_b32_e32 v4, v2, v4
	v_mul_lo_u32 v5, v5, 24
	v_mul_hi_u32 v10, v4, 24
	v_mul_lo_u32 v11, v4, 24
	s_waitcnt vmcnt(1)
	v_mov_b32_e32 v4, v8
	v_add_u32_e32 v5, v10, v5
	s_waitcnt vmcnt(0)
	v_add_co_u32_e32 v6, vcc, v6, v11
	v_addc_co_u32_e32 v7, vcc, v7, v5, vcc
	global_store_dwordx2 v[6:7], v[8:9], off
	v_mov_b32_e32 v5, v9
	s_waitcnt vmcnt(0)
	global_atomic_cmpswap_x2 v[4:5], v50, v[2:5], s[28:29] offset:24 glc
	s_waitcnt vmcnt(0)
	v_cmp_ne_u64_e32 vcc, v[4:5], v[8:9]
	s_and_b64 exec, exec, vcc
	s_cbranch_execz .LBB5_30
; %bb.28:                               ;   in Loop: Header=BB5_2 Depth=1
	s_mov_b64 s[4:5], 0
.LBB5_29:                               ;   Parent Loop BB5_2 Depth=1
                                        ; =>  This Inner Loop Header: Depth=2
	s_sleep 1
	global_store_dwordx2 v[6:7], v[4:5], off
	s_waitcnt vmcnt(0)
	global_atomic_cmpswap_x2 v[8:9], v50, v[2:5], s[28:29] offset:24 glc
	s_waitcnt vmcnt(0)
	v_cmp_eq_u64_e32 vcc, v[8:9], v[4:5]
	v_mov_b32_e32 v4, v8
	s_or_b64 s[4:5], vcc, s[4:5]
	v_mov_b32_e32 v5, v9
	s_andn2_b64 exec, exec, s[4:5]
	s_cbranch_execnz .LBB5_29
.LBB5_30:                               ;   in Loop: Header=BB5_2 Depth=1
	s_or_b64 exec, exec, s[8:9]
	s_and_b64 vcc, exec, s[26:27]
	s_cbranch_vccz .LBB5_115
; %bb.31:                               ;   in Loop: Header=BB5_2 Depth=1
	s_waitcnt vmcnt(0)
	v_and_b32_e32 v25, 2, v0
	v_and_b32_e32 v2, -3, v0
	v_mov_b32_e32 v3, v1
	s_mov_b64 s[8:9], 4
	s_getpc_b64 s[6:7]
	s_add_u32 s6, s6, .str.7@rel32@lo+4
	s_addc_u32 s7, s7, .str.7@rel32@hi+12
	s_branch .LBB5_33
.LBB5_32:                               ;   in Loop: Header=BB5_33 Depth=2
	s_or_b64 exec, exec, s[14:15]
	s_sub_u32 s8, s8, s10
	s_subb_u32 s9, s9, s11
	s_add_u32 s6, s6, s10
	s_addc_u32 s7, s7, s11
	s_cmp_lg_u64 s[8:9], 0
	s_cbranch_scc0 .LBB5_114
.LBB5_33:                               ;   Parent Loop BB5_2 Depth=1
                                        ; =>  This Loop Header: Depth=2
                                        ;       Child Loop BB5_36 Depth 3
                                        ;       Child Loop BB5_43 Depth 3
	;; [unrolled: 1-line block ×11, first 2 shown]
	v_cmp_lt_u64_e64 s[4:5], s[8:9], 56
	v_cmp_gt_u64_e64 s[12:13], s[8:9], 7
	s_and_b64 s[4:5], s[4:5], exec
	s_cselect_b32 s11, s9, 0
	s_cselect_b32 s10, s8, 56
	s_and_b64 vcc, exec, s[12:13]
	s_cbranch_vccnz .LBB5_38
; %bb.34:                               ;   in Loop: Header=BB5_33 Depth=2
	s_waitcnt vmcnt(0)
	v_mov_b32_e32 v4, 0
	s_cmp_eq_u64 s[8:9], 0
	v_mov_b32_e32 v5, 0
	s_mov_b64 s[4:5], 0
	s_cbranch_scc1 .LBB5_37
; %bb.35:                               ;   in Loop: Header=BB5_33 Depth=2
	v_mov_b32_e32 v4, 0
	s_lshl_b64 s[12:13], s[10:11], 3
	s_mov_b64 s[14:15], 0
	v_mov_b32_e32 v5, 0
	s_mov_b64 s[16:17], s[6:7]
.LBB5_36:                               ;   Parent Loop BB5_2 Depth=1
                                        ;     Parent Loop BB5_33 Depth=2
                                        ; =>    This Inner Loop Header: Depth=3
	global_load_ubyte v6, v50, s[16:17]
	s_waitcnt vmcnt(0)
	v_and_b32_e32 v49, 0xffff, v6
	v_lshlrev_b64 v[6:7], s14, v[49:50]
	s_add_u32 s14, s14, 8
	s_addc_u32 s15, s15, 0
	s_add_u32 s16, s16, 1
	s_addc_u32 s17, s17, 0
	v_or_b32_e32 v4, v6, v4
	s_cmp_lg_u32 s12, s14
	v_or_b32_e32 v5, v7, v5
	s_cbranch_scc1 .LBB5_36
.LBB5_37:                               ;   in Loop: Header=BB5_33 Depth=2
	s_mov_b32 s16, 0
	s_andn2_b64 vcc, exec, s[4:5]
	s_mov_b64 s[4:5], s[6:7]
	s_cbranch_vccz .LBB5_39
	s_branch .LBB5_40
.LBB5_38:                               ;   in Loop: Header=BB5_33 Depth=2
                                        ; implicit-def: $vgpr4_vgpr5
                                        ; implicit-def: $sgpr16
	s_mov_b64 s[4:5], s[6:7]
.LBB5_39:                               ;   in Loop: Header=BB5_33 Depth=2
	global_load_dwordx2 v[4:5], v50, s[6:7]
	s_add_i32 s16, s10, -8
	s_add_u32 s4, s6, 8
	s_addc_u32 s5, s7, 0
.LBB5_40:                               ;   in Loop: Header=BB5_33 Depth=2
	s_cmp_gt_u32 s16, 7
	s_cbranch_scc1 .LBB5_44
; %bb.41:                               ;   in Loop: Header=BB5_33 Depth=2
	s_cmp_eq_u32 s16, 0
	s_cbranch_scc1 .LBB5_45
; %bb.42:                               ;   in Loop: Header=BB5_33 Depth=2
	v_mov_b32_e32 v6, 0
	s_mov_b64 s[12:13], 0
	v_mov_b32_e32 v7, 0
	s_mov_b64 s[14:15], 0
.LBB5_43:                               ;   Parent Loop BB5_2 Depth=1
                                        ;     Parent Loop BB5_33 Depth=2
                                        ; =>    This Inner Loop Header: Depth=3
	s_add_u32 s18, s4, s14
	s_addc_u32 s19, s5, s15
	global_load_ubyte v8, v50, s[18:19]
	s_add_u32 s14, s14, 1
	s_addc_u32 s15, s15, 0
	s_waitcnt vmcnt(0)
	v_and_b32_e32 v49, 0xffff, v8
	v_lshlrev_b64 v[8:9], s12, v[49:50]
	s_add_u32 s12, s12, 8
	s_addc_u32 s13, s13, 0
	v_or_b32_e32 v6, v8, v6
	s_cmp_lg_u32 s16, s14
	v_or_b32_e32 v7, v9, v7
	s_cbranch_scc1 .LBB5_43
	s_branch .LBB5_46
.LBB5_44:                               ;   in Loop: Header=BB5_33 Depth=2
                                        ; implicit-def: $vgpr6_vgpr7
                                        ; implicit-def: $sgpr17
	s_branch .LBB5_47
.LBB5_45:                               ;   in Loop: Header=BB5_33 Depth=2
	v_mov_b32_e32 v6, 0
	v_mov_b32_e32 v7, 0
.LBB5_46:                               ;   in Loop: Header=BB5_33 Depth=2
	s_mov_b32 s17, 0
	s_cbranch_execnz .LBB5_48
.LBB5_47:                               ;   in Loop: Header=BB5_33 Depth=2
	global_load_dwordx2 v[6:7], v50, s[4:5]
	s_add_i32 s17, s16, -8
	s_add_u32 s4, s4, 8
	s_addc_u32 s5, s5, 0
.LBB5_48:                               ;   in Loop: Header=BB5_33 Depth=2
	s_cmp_gt_u32 s17, 7
	s_cbranch_scc1 .LBB5_52
; %bb.49:                               ;   in Loop: Header=BB5_33 Depth=2
	s_cmp_eq_u32 s17, 0
	s_cbranch_scc1 .LBB5_53
; %bb.50:                               ;   in Loop: Header=BB5_33 Depth=2
	v_mov_b32_e32 v8, 0
	s_mov_b64 s[12:13], 0
	v_mov_b32_e32 v9, 0
	s_mov_b64 s[14:15], 0
.LBB5_51:                               ;   Parent Loop BB5_2 Depth=1
                                        ;     Parent Loop BB5_33 Depth=2
                                        ; =>    This Inner Loop Header: Depth=3
	s_add_u32 s18, s4, s14
	s_addc_u32 s19, s5, s15
	global_load_ubyte v10, v50, s[18:19]
	s_add_u32 s14, s14, 1
	s_addc_u32 s15, s15, 0
	s_waitcnt vmcnt(0)
	v_and_b32_e32 v49, 0xffff, v10
	v_lshlrev_b64 v[10:11], s12, v[49:50]
	s_add_u32 s12, s12, 8
	s_addc_u32 s13, s13, 0
	v_or_b32_e32 v8, v10, v8
	s_cmp_lg_u32 s17, s14
	v_or_b32_e32 v9, v11, v9
	s_cbranch_scc1 .LBB5_51
	s_branch .LBB5_54
.LBB5_52:                               ;   in Loop: Header=BB5_33 Depth=2
                                        ; implicit-def: $sgpr16
	s_branch .LBB5_55
.LBB5_53:                               ;   in Loop: Header=BB5_33 Depth=2
	v_mov_b32_e32 v8, 0
	v_mov_b32_e32 v9, 0
.LBB5_54:                               ;   in Loop: Header=BB5_33 Depth=2
	s_mov_b32 s16, 0
	s_cbranch_execnz .LBB5_56
.LBB5_55:                               ;   in Loop: Header=BB5_33 Depth=2
	global_load_dwordx2 v[8:9], v50, s[4:5]
	s_add_i32 s16, s17, -8
	s_add_u32 s4, s4, 8
	s_addc_u32 s5, s5, 0
.LBB5_56:                               ;   in Loop: Header=BB5_33 Depth=2
	s_cmp_gt_u32 s16, 7
	s_cbranch_scc1 .LBB5_60
; %bb.57:                               ;   in Loop: Header=BB5_33 Depth=2
	s_cmp_eq_u32 s16, 0
	s_cbranch_scc1 .LBB5_61
; %bb.58:                               ;   in Loop: Header=BB5_33 Depth=2
	v_mov_b32_e32 v10, 0
	s_mov_b64 s[12:13], 0
	v_mov_b32_e32 v11, 0
	s_mov_b64 s[14:15], 0
.LBB5_59:                               ;   Parent Loop BB5_2 Depth=1
                                        ;     Parent Loop BB5_33 Depth=2
                                        ; =>    This Inner Loop Header: Depth=3
	s_add_u32 s18, s4, s14
	s_addc_u32 s19, s5, s15
	global_load_ubyte v12, v50, s[18:19]
	s_add_u32 s14, s14, 1
	s_addc_u32 s15, s15, 0
	s_waitcnt vmcnt(0)
	v_and_b32_e32 v49, 0xffff, v12
	v_lshlrev_b64 v[12:13], s12, v[49:50]
	s_add_u32 s12, s12, 8
	s_addc_u32 s13, s13, 0
	v_or_b32_e32 v10, v12, v10
	s_cmp_lg_u32 s16, s14
	v_or_b32_e32 v11, v13, v11
	s_cbranch_scc1 .LBB5_59
	s_branch .LBB5_62
.LBB5_60:                               ;   in Loop: Header=BB5_33 Depth=2
                                        ; implicit-def: $vgpr10_vgpr11
                                        ; implicit-def: $sgpr17
	s_branch .LBB5_63
.LBB5_61:                               ;   in Loop: Header=BB5_33 Depth=2
	v_mov_b32_e32 v10, 0
	v_mov_b32_e32 v11, 0
.LBB5_62:                               ;   in Loop: Header=BB5_33 Depth=2
	s_mov_b32 s17, 0
	s_cbranch_execnz .LBB5_64
.LBB5_63:                               ;   in Loop: Header=BB5_33 Depth=2
	global_load_dwordx2 v[10:11], v50, s[4:5]
	s_add_i32 s17, s16, -8
	s_add_u32 s4, s4, 8
	s_addc_u32 s5, s5, 0
.LBB5_64:                               ;   in Loop: Header=BB5_33 Depth=2
	s_cmp_gt_u32 s17, 7
	s_cbranch_scc1 .LBB5_68
; %bb.65:                               ;   in Loop: Header=BB5_33 Depth=2
	s_cmp_eq_u32 s17, 0
	s_cbranch_scc1 .LBB5_69
; %bb.66:                               ;   in Loop: Header=BB5_33 Depth=2
	v_mov_b32_e32 v12, 0
	s_mov_b64 s[12:13], 0
	v_mov_b32_e32 v13, 0
	s_mov_b64 s[14:15], 0
.LBB5_67:                               ;   Parent Loop BB5_2 Depth=1
                                        ;     Parent Loop BB5_33 Depth=2
                                        ; =>    This Inner Loop Header: Depth=3
	s_add_u32 s18, s4, s14
	s_addc_u32 s19, s5, s15
	global_load_ubyte v14, v50, s[18:19]
	s_add_u32 s14, s14, 1
	s_addc_u32 s15, s15, 0
	s_waitcnt vmcnt(0)
	v_and_b32_e32 v49, 0xffff, v14
	v_lshlrev_b64 v[14:15], s12, v[49:50]
	s_add_u32 s12, s12, 8
	s_addc_u32 s13, s13, 0
	v_or_b32_e32 v12, v14, v12
	s_cmp_lg_u32 s17, s14
	v_or_b32_e32 v13, v15, v13
	s_cbranch_scc1 .LBB5_67
	s_branch .LBB5_70
.LBB5_68:                               ;   in Loop: Header=BB5_33 Depth=2
                                        ; implicit-def: $sgpr16
	s_branch .LBB5_71
.LBB5_69:                               ;   in Loop: Header=BB5_33 Depth=2
	v_mov_b32_e32 v12, 0
	v_mov_b32_e32 v13, 0
.LBB5_70:                               ;   in Loop: Header=BB5_33 Depth=2
	s_mov_b32 s16, 0
	s_cbranch_execnz .LBB5_72
.LBB5_71:                               ;   in Loop: Header=BB5_33 Depth=2
	global_load_dwordx2 v[12:13], v50, s[4:5]
	s_add_i32 s16, s17, -8
	s_add_u32 s4, s4, 8
	s_addc_u32 s5, s5, 0
.LBB5_72:                               ;   in Loop: Header=BB5_33 Depth=2
	s_cmp_gt_u32 s16, 7
	s_cbranch_scc1 .LBB5_76
; %bb.73:                               ;   in Loop: Header=BB5_33 Depth=2
	s_cmp_eq_u32 s16, 0
	s_cbranch_scc1 .LBB5_77
; %bb.74:                               ;   in Loop: Header=BB5_33 Depth=2
	v_mov_b32_e32 v14, 0
	s_mov_b64 s[12:13], 0
	v_mov_b32_e32 v15, 0
	s_mov_b64 s[14:15], 0
.LBB5_75:                               ;   Parent Loop BB5_2 Depth=1
                                        ;     Parent Loop BB5_33 Depth=2
                                        ; =>    This Inner Loop Header: Depth=3
	s_add_u32 s18, s4, s14
	s_addc_u32 s19, s5, s15
	global_load_ubyte v16, v50, s[18:19]
	s_add_u32 s14, s14, 1
	s_addc_u32 s15, s15, 0
	s_waitcnt vmcnt(0)
	v_and_b32_e32 v49, 0xffff, v16
	v_lshlrev_b64 v[16:17], s12, v[49:50]
	s_add_u32 s12, s12, 8
	s_addc_u32 s13, s13, 0
	v_or_b32_e32 v14, v16, v14
	s_cmp_lg_u32 s16, s14
	v_or_b32_e32 v15, v17, v15
	s_cbranch_scc1 .LBB5_75
	s_branch .LBB5_78
.LBB5_76:                               ;   in Loop: Header=BB5_33 Depth=2
                                        ; implicit-def: $vgpr14_vgpr15
                                        ; implicit-def: $sgpr17
	s_branch .LBB5_79
.LBB5_77:                               ;   in Loop: Header=BB5_33 Depth=2
	v_mov_b32_e32 v14, 0
	v_mov_b32_e32 v15, 0
.LBB5_78:                               ;   in Loop: Header=BB5_33 Depth=2
	s_mov_b32 s17, 0
	s_cbranch_execnz .LBB5_80
.LBB5_79:                               ;   in Loop: Header=BB5_33 Depth=2
	global_load_dwordx2 v[14:15], v50, s[4:5]
	s_add_i32 s17, s16, -8
	s_add_u32 s4, s4, 8
	s_addc_u32 s5, s5, 0
.LBB5_80:                               ;   in Loop: Header=BB5_33 Depth=2
	s_cmp_gt_u32 s17, 7
	s_cbranch_scc1 .LBB5_84
; %bb.81:                               ;   in Loop: Header=BB5_33 Depth=2
	s_cmp_eq_u32 s17, 0
	s_cbranch_scc1 .LBB5_85
; %bb.82:                               ;   in Loop: Header=BB5_33 Depth=2
	v_mov_b32_e32 v16, 0
	s_mov_b64 s[12:13], 0
	v_mov_b32_e32 v17, 0
	s_mov_b64 s[14:15], s[4:5]
.LBB5_83:                               ;   Parent Loop BB5_2 Depth=1
                                        ;     Parent Loop BB5_33 Depth=2
                                        ; =>    This Inner Loop Header: Depth=3
	global_load_ubyte v18, v50, s[14:15]
	s_add_i32 s17, s17, -1
	s_waitcnt vmcnt(0)
	v_and_b32_e32 v49, 0xffff, v18
	v_lshlrev_b64 v[18:19], s12, v[49:50]
	s_add_u32 s12, s12, 8
	s_addc_u32 s13, s13, 0
	s_add_u32 s14, s14, 1
	s_addc_u32 s15, s15, 0
	v_or_b32_e32 v16, v18, v16
	s_cmp_lg_u32 s17, 0
	v_or_b32_e32 v17, v19, v17
	s_cbranch_scc1 .LBB5_83
	s_branch .LBB5_86
.LBB5_84:                               ;   in Loop: Header=BB5_33 Depth=2
	s_branch .LBB5_87
.LBB5_85:                               ;   in Loop: Header=BB5_33 Depth=2
	v_mov_b32_e32 v16, 0
	v_mov_b32_e32 v17, 0
.LBB5_86:                               ;   in Loop: Header=BB5_33 Depth=2
	s_cbranch_execnz .LBB5_88
.LBB5_87:                               ;   in Loop: Header=BB5_33 Depth=2
	global_load_dwordx2 v[16:17], v50, s[4:5]
.LBB5_88:                               ;   in Loop: Header=BB5_33 Depth=2
	v_readfirstlane_b32 s4, v55
	v_mov_b32_e32 v22, 0
	v_mov_b32_e32 v23, 0
	v_cmp_eq_u32_e64 s[4:5], s4, v55
	s_and_saveexec_b64 s[12:13], s[4:5]
	s_cbranch_execz .LBB5_94
; %bb.89:                               ;   in Loop: Header=BB5_33 Depth=2
	global_load_dwordx2 v[20:21], v50, s[28:29] offset:24 glc
	s_waitcnt vmcnt(0)
	buffer_wbinvl1_vol
	global_load_dwordx2 v[18:19], v50, s[28:29] offset:40
	global_load_dwordx2 v[22:23], v50, s[28:29]
	s_waitcnt vmcnt(1)
	v_and_b32_e32 v18, v18, v20
	v_and_b32_e32 v19, v19, v21
	v_mul_lo_u32 v19, v19, 24
	v_mul_hi_u32 v26, v18, 24
	v_mul_lo_u32 v18, v18, 24
	v_add_u32_e32 v19, v26, v19
	s_waitcnt vmcnt(0)
	v_add_co_u32_e32 v18, vcc, v22, v18
	v_addc_co_u32_e32 v19, vcc, v23, v19, vcc
	global_load_dwordx2 v[18:19], v[18:19], off glc
	s_waitcnt vmcnt(0)
	global_atomic_cmpswap_x2 v[22:23], v50, v[18:21], s[28:29] offset:24 glc
	s_waitcnt vmcnt(0)
	buffer_wbinvl1_vol
	v_cmp_ne_u64_e32 vcc, v[22:23], v[20:21]
	s_and_saveexec_b64 s[14:15], vcc
	s_cbranch_execz .LBB5_93
; %bb.90:                               ;   in Loop: Header=BB5_33 Depth=2
	s_mov_b64 s[16:17], 0
.LBB5_91:                               ;   Parent Loop BB5_2 Depth=1
                                        ;     Parent Loop BB5_33 Depth=2
                                        ; =>    This Inner Loop Header: Depth=3
	s_sleep 1
	global_load_dwordx2 v[18:19], v50, s[28:29] offset:40
	global_load_dwordx2 v[26:27], v50, s[28:29]
	v_mov_b32_e32 v20, v22
	v_mov_b32_e32 v21, v23
	s_waitcnt vmcnt(1)
	v_and_b32_e32 v18, v18, v20
	s_waitcnt vmcnt(0)
	v_mad_u64_u32 v[22:23], s[18:19], v18, 24, v[26:27]
	v_and_b32_e32 v19, v19, v21
	v_mov_b32_e32 v18, v23
	v_mad_u64_u32 v[18:19], s[18:19], v19, 24, v[18:19]
	v_mov_b32_e32 v23, v18
	global_load_dwordx2 v[18:19], v[22:23], off glc
	s_waitcnt vmcnt(0)
	global_atomic_cmpswap_x2 v[22:23], v50, v[18:21], s[28:29] offset:24 glc
	s_waitcnt vmcnt(0)
	buffer_wbinvl1_vol
	v_cmp_eq_u64_e32 vcc, v[22:23], v[20:21]
	s_or_b64 s[16:17], vcc, s[16:17]
	s_andn2_b64 exec, exec, s[16:17]
	s_cbranch_execnz .LBB5_91
; %bb.92:                               ;   in Loop: Header=BB5_33 Depth=2
	s_or_b64 exec, exec, s[16:17]
.LBB5_93:                               ;   in Loop: Header=BB5_33 Depth=2
	s_or_b64 exec, exec, s[14:15]
.LBB5_94:                               ;   in Loop: Header=BB5_33 Depth=2
	s_or_b64 exec, exec, s[12:13]
	global_load_dwordx2 v[26:27], v50, s[28:29] offset:40
	global_load_dwordx4 v[18:21], v50, s[28:29]
	v_readfirstlane_b32 s12, v22
	v_readfirstlane_b32 s13, v23
	s_mov_b64 s[14:15], exec
	s_waitcnt vmcnt(1)
	v_readfirstlane_b32 s16, v26
	v_readfirstlane_b32 s17, v27
	s_and_b64 s[16:17], s[12:13], s[16:17]
	s_mul_i32 s18, s17, 24
	s_mul_hi_u32 s19, s16, 24
	s_mul_i32 s20, s16, 24
	s_add_i32 s18, s19, s18
	v_mov_b32_e32 v23, s18
	s_waitcnt vmcnt(0)
	v_add_co_u32_e32 v22, vcc, s20, v18
	v_addc_co_u32_e32 v23, vcc, v19, v23, vcc
	s_and_saveexec_b64 s[18:19], s[4:5]
	s_cbranch_execz .LBB5_96
; %bb.95:                               ;   in Loop: Header=BB5_33 Depth=2
	v_mov_b32_e32 v52, s15
	v_mov_b32_e32 v51, s14
	global_store_dwordx4 v[22:23], v[51:54], off offset:8
.LBB5_96:                               ;   in Loop: Header=BB5_33 Depth=2
	s_or_b64 exec, exec, s[18:19]
	s_lshl_b64 s[14:15], s[16:17], 12
	v_mov_b32_e32 v26, s15
	v_add_co_u32_e32 v20, vcc, s14, v20
	v_addc_co_u32_e32 v21, vcc, v21, v26, vcc
	v_cmp_gt_u64_e64 vcc, s[8:9], 56
	v_or_b32_e32 v27, v2, v25
	s_lshl_b32 s14, s10, 2
	v_cndmask_b32_e32 v2, v27, v2, vcc
	s_add_i32 s14, s14, 28
	v_or_b32_e32 v26, 0, v3
	s_and_b32 s14, s14, 0x1e0
	v_and_b32_e32 v2, 0xffffff1f, v2
	v_cndmask_b32_e32 v3, v26, v3, vcc
	v_or_b32_e32 v2, s14, v2
	v_lshlrev_b32_e32 v26, 6, v55
	v_readfirstlane_b32 s14, v20
	v_readfirstlane_b32 s15, v21
	s_nop 4
	global_store_dwordx4 v26, v[2:5], s[14:15]
	global_store_dwordx4 v26, v[6:9], s[14:15] offset:16
	global_store_dwordx4 v26, v[10:13], s[14:15] offset:32
	;; [unrolled: 1-line block ×3, first 2 shown]
	s_and_saveexec_b64 s[14:15], s[4:5]
	s_cbranch_execz .LBB5_104
; %bb.97:                               ;   in Loop: Header=BB5_33 Depth=2
	global_load_dwordx2 v[10:11], v50, s[28:29] offset:32 glc
	global_load_dwordx2 v[2:3], v50, s[28:29] offset:40
	v_mov_b32_e32 v8, s12
	v_mov_b32_e32 v9, s13
	s_waitcnt vmcnt(0)
	v_readfirstlane_b32 s16, v2
	v_readfirstlane_b32 s17, v3
	s_and_b64 s[16:17], s[16:17], s[12:13]
	s_mul_i32 s17, s17, 24
	s_mul_hi_u32 s18, s16, 24
	s_mul_i32 s16, s16, 24
	s_add_i32 s17, s18, s17
	v_mov_b32_e32 v2, s17
	v_add_co_u32_e32 v6, vcc, s16, v18
	v_addc_co_u32_e32 v7, vcc, v19, v2, vcc
	global_store_dwordx2 v[6:7], v[10:11], off
	s_waitcnt vmcnt(0)
	global_atomic_cmpswap_x2 v[4:5], v50, v[8:11], s[28:29] offset:32 glc
	s_waitcnt vmcnt(0)
	v_cmp_ne_u64_e32 vcc, v[4:5], v[10:11]
	s_and_saveexec_b64 s[16:17], vcc
	s_cbranch_execz .LBB5_100
; %bb.98:                               ;   in Loop: Header=BB5_33 Depth=2
	s_mov_b64 s[18:19], 0
.LBB5_99:                               ;   Parent Loop BB5_2 Depth=1
                                        ;     Parent Loop BB5_33 Depth=2
                                        ; =>    This Inner Loop Header: Depth=3
	s_sleep 1
	global_store_dwordx2 v[6:7], v[4:5], off
	v_mov_b32_e32 v2, s12
	v_mov_b32_e32 v3, s13
	s_waitcnt vmcnt(0)
	global_atomic_cmpswap_x2 v[2:3], v50, v[2:5], s[28:29] offset:32 glc
	s_waitcnt vmcnt(0)
	v_cmp_eq_u64_e32 vcc, v[2:3], v[4:5]
	v_mov_b32_e32 v5, v3
	s_or_b64 s[18:19], vcc, s[18:19]
	v_mov_b32_e32 v4, v2
	s_andn2_b64 exec, exec, s[18:19]
	s_cbranch_execnz .LBB5_99
.LBB5_100:                              ;   in Loop: Header=BB5_33 Depth=2
	s_or_b64 exec, exec, s[16:17]
	global_load_dwordx2 v[2:3], v50, s[28:29] offset:16
	s_mov_b64 s[18:19], exec
	v_mbcnt_lo_u32_b32 v4, s18, 0
	v_mbcnt_hi_u32_b32 v4, s19, v4
	v_cmp_eq_u32_e32 vcc, 0, v4
	s_and_saveexec_b64 s[16:17], vcc
	s_cbranch_execz .LBB5_102
; %bb.101:                              ;   in Loop: Header=BB5_33 Depth=2
	s_bcnt1_i32_b64 s18, s[18:19]
	v_mov_b32_e32 v49, s18
	s_waitcnt vmcnt(0)
	global_atomic_add_x2 v[2:3], v[49:50], off offset:8
.LBB5_102:                              ;   in Loop: Header=BB5_33 Depth=2
	s_or_b64 exec, exec, s[16:17]
	s_waitcnt vmcnt(0)
	global_load_dwordx2 v[4:5], v[2:3], off offset:16
	s_waitcnt vmcnt(0)
	v_cmp_eq_u64_e32 vcc, 0, v[4:5]
	s_cbranch_vccnz .LBB5_104
; %bb.103:                              ;   in Loop: Header=BB5_33 Depth=2
	global_load_dword v49, v[2:3], off offset:24
	s_waitcnt vmcnt(0)
	v_and_b32_e32 v2, 0xffffff, v49
	v_readfirstlane_b32 m0, v2
	global_store_dwordx2 v[4:5], v[49:50], off
	s_sendmsg sendmsg(MSG_INTERRUPT)
.LBB5_104:                              ;   in Loop: Header=BB5_33 Depth=2
	s_or_b64 exec, exec, s[14:15]
	v_add_co_u32_e32 v2, vcc, v20, v26
	v_addc_co_u32_e32 v3, vcc, 0, v21, vcc
	s_branch .LBB5_108
.LBB5_105:                              ;   in Loop: Header=BB5_108 Depth=3
	s_or_b64 exec, exec, s[14:15]
	v_readfirstlane_b32 s14, v4
	s_cmp_eq_u32 s14, 0
	s_cbranch_scc1 .LBB5_107
; %bb.106:                              ;   in Loop: Header=BB5_108 Depth=3
	s_sleep 1
	s_cbranch_execnz .LBB5_108
	s_branch .LBB5_110
.LBB5_107:                              ;   in Loop: Header=BB5_33 Depth=2
	s_branch .LBB5_110
.LBB5_108:                              ;   Parent Loop BB5_2 Depth=1
                                        ;     Parent Loop BB5_33 Depth=2
                                        ; =>    This Inner Loop Header: Depth=3
	v_mov_b32_e32 v4, 1
	s_and_saveexec_b64 s[14:15], s[4:5]
	s_cbranch_execz .LBB5_105
; %bb.109:                              ;   in Loop: Header=BB5_108 Depth=3
	global_load_dword v4, v[22:23], off offset:20 glc
	s_waitcnt vmcnt(0)
	buffer_wbinvl1_vol
	v_and_b32_e32 v4, 1, v4
	s_branch .LBB5_105
.LBB5_110:                              ;   in Loop: Header=BB5_33 Depth=2
	global_load_dwordx4 v[2:5], v[2:3], off
	s_and_saveexec_b64 s[14:15], s[4:5]
	s_cbranch_execz .LBB5_32
; %bb.111:                              ;   in Loop: Header=BB5_33 Depth=2
	global_load_dwordx2 v[6:7], v50, s[28:29] offset:40
	global_load_dwordx2 v[10:11], v50, s[28:29] offset:24 glc
	global_load_dwordx2 v[8:9], v50, s[28:29]
	s_waitcnt vmcnt(3)
	v_mov_b32_e32 v5, s13
	s_waitcnt vmcnt(2)
	v_add_co_u32_e32 v12, vcc, 1, v6
	v_addc_co_u32_e32 v13, vcc, 0, v7, vcc
	v_add_co_u32_e32 v4, vcc, s12, v12
	v_addc_co_u32_e32 v5, vcc, v13, v5, vcc
	v_cmp_eq_u64_e32 vcc, 0, v[4:5]
	v_cndmask_b32_e32 v5, v5, v13, vcc
	v_cndmask_b32_e32 v4, v4, v12, vcc
	v_and_b32_e32 v7, v5, v7
	v_and_b32_e32 v6, v4, v6
	v_mul_lo_u32 v7, v7, 24
	v_mul_hi_u32 v12, v6, 24
	v_mul_lo_u32 v13, v6, 24
	s_waitcnt vmcnt(1)
	v_mov_b32_e32 v6, v10
	v_add_u32_e32 v7, v12, v7
	s_waitcnt vmcnt(0)
	v_add_co_u32_e32 v8, vcc, v8, v13
	v_addc_co_u32_e32 v9, vcc, v9, v7, vcc
	global_store_dwordx2 v[8:9], v[10:11], off
	v_mov_b32_e32 v7, v11
	s_waitcnt vmcnt(0)
	global_atomic_cmpswap_x2 v[6:7], v50, v[4:7], s[28:29] offset:24 glc
	s_waitcnt vmcnt(0)
	v_cmp_ne_u64_e32 vcc, v[6:7], v[10:11]
	s_and_b64 exec, exec, vcc
	s_cbranch_execz .LBB5_32
; %bb.112:                              ;   in Loop: Header=BB5_33 Depth=2
	s_mov_b64 s[4:5], 0
.LBB5_113:                              ;   Parent Loop BB5_2 Depth=1
                                        ;     Parent Loop BB5_33 Depth=2
                                        ; =>    This Inner Loop Header: Depth=3
	s_sleep 1
	global_store_dwordx2 v[8:9], v[6:7], off
	s_waitcnt vmcnt(0)
	global_atomic_cmpswap_x2 v[10:11], v50, v[4:7], s[28:29] offset:24 glc
	s_waitcnt vmcnt(0)
	v_cmp_eq_u64_e32 vcc, v[10:11], v[6:7]
	v_mov_b32_e32 v6, v10
	s_or_b64 s[4:5], vcc, s[4:5]
	v_mov_b32_e32 v7, v11
	s_andn2_b64 exec, exec, s[4:5]
	s_cbranch_execnz .LBB5_113
	s_branch .LBB5_32
.LBB5_114:                              ;   in Loop: Header=BB5_2 Depth=1
	s_branch .LBB5_143
.LBB5_115:                              ;   in Loop: Header=BB5_2 Depth=1
                                        ; implicit-def: $vgpr2_vgpr3
	s_cbranch_execz .LBB5_143
; %bb.116:                              ;   in Loop: Header=BB5_2 Depth=1
	v_readfirstlane_b32 s4, v55
	s_waitcnt vmcnt(0)
	v_mov_b32_e32 v2, 0
	v_mov_b32_e32 v3, 0
	v_cmp_eq_u32_e64 s[4:5], s4, v55
	s_and_saveexec_b64 s[6:7], s[4:5]
	s_cbranch_execz .LBB5_122
; %bb.117:                              ;   in Loop: Header=BB5_2 Depth=1
	global_load_dwordx2 v[4:5], v50, s[28:29] offset:24 glc
	s_waitcnt vmcnt(0)
	buffer_wbinvl1_vol
	global_load_dwordx2 v[2:3], v50, s[28:29] offset:40
	global_load_dwordx2 v[6:7], v50, s[28:29]
	s_waitcnt vmcnt(1)
	v_and_b32_e32 v2, v2, v4
	v_and_b32_e32 v3, v3, v5
	v_mul_lo_u32 v3, v3, 24
	v_mul_hi_u32 v8, v2, 24
	v_mul_lo_u32 v2, v2, 24
	v_add_u32_e32 v3, v8, v3
	s_waitcnt vmcnt(0)
	v_add_co_u32_e32 v2, vcc, v6, v2
	v_addc_co_u32_e32 v3, vcc, v7, v3, vcc
	global_load_dwordx2 v[2:3], v[2:3], off glc
	s_waitcnt vmcnt(0)
	global_atomic_cmpswap_x2 v[2:3], v50, v[2:5], s[28:29] offset:24 glc
	s_waitcnt vmcnt(0)
	buffer_wbinvl1_vol
	v_cmp_ne_u64_e32 vcc, v[2:3], v[4:5]
	s_and_saveexec_b64 s[8:9], vcc
	s_cbranch_execz .LBB5_121
; %bb.118:                              ;   in Loop: Header=BB5_2 Depth=1
	s_mov_b64 s[10:11], 0
.LBB5_119:                              ;   Parent Loop BB5_2 Depth=1
                                        ; =>  This Inner Loop Header: Depth=2
	s_sleep 1
	global_load_dwordx2 v[6:7], v50, s[28:29] offset:40
	global_load_dwordx2 v[8:9], v50, s[28:29]
	v_mov_b32_e32 v5, v3
	v_mov_b32_e32 v4, v2
	s_waitcnt vmcnt(1)
	v_and_b32_e32 v2, v6, v4
	s_waitcnt vmcnt(0)
	v_mad_u64_u32 v[2:3], s[12:13], v2, 24, v[8:9]
	v_and_b32_e32 v6, v7, v5
	v_mad_u64_u32 v[6:7], s[12:13], v6, 24, v[3:4]
	v_mov_b32_e32 v3, v6
	global_load_dwordx2 v[2:3], v[2:3], off glc
	s_waitcnt vmcnt(0)
	global_atomic_cmpswap_x2 v[2:3], v50, v[2:5], s[28:29] offset:24 glc
	s_waitcnt vmcnt(0)
	buffer_wbinvl1_vol
	v_cmp_eq_u64_e32 vcc, v[2:3], v[4:5]
	s_or_b64 s[10:11], vcc, s[10:11]
	s_andn2_b64 exec, exec, s[10:11]
	s_cbranch_execnz .LBB5_119
; %bb.120:                              ;   in Loop: Header=BB5_2 Depth=1
	s_or_b64 exec, exec, s[10:11]
.LBB5_121:                              ;   in Loop: Header=BB5_2 Depth=1
	s_or_b64 exec, exec, s[8:9]
.LBB5_122:                              ;   in Loop: Header=BB5_2 Depth=1
	s_or_b64 exec, exec, s[6:7]
	global_load_dwordx2 v[8:9], v50, s[28:29] offset:40
	global_load_dwordx4 v[4:7], v50, s[28:29]
	v_readfirstlane_b32 s6, v2
	v_readfirstlane_b32 s7, v3
	s_mov_b64 s[8:9], exec
	s_waitcnt vmcnt(1)
	v_readfirstlane_b32 s10, v8
	v_readfirstlane_b32 s11, v9
	s_and_b64 s[10:11], s[6:7], s[10:11]
	s_mul_i32 s12, s11, 24
	s_mul_hi_u32 s13, s10, 24
	s_mul_i32 s14, s10, 24
	s_add_i32 s12, s13, s12
	v_mov_b32_e32 v2, s12
	s_waitcnt vmcnt(0)
	v_add_co_u32_e32 v8, vcc, s14, v4
	v_addc_co_u32_e32 v9, vcc, v5, v2, vcc
	s_and_saveexec_b64 s[12:13], s[4:5]
	s_cbranch_execz .LBB5_124
; %bb.123:                              ;   in Loop: Header=BB5_2 Depth=1
	v_mov_b32_e32 v52, s9
	v_mov_b32_e32 v51, s8
	global_store_dwordx4 v[8:9], v[51:54], off offset:8
.LBB5_124:                              ;   in Loop: Header=BB5_2 Depth=1
	s_or_b64 exec, exec, s[12:13]
	s_lshl_b64 s[8:9], s[10:11], 12
	v_mov_b32_e32 v2, s9
	v_add_co_u32_e32 v6, vcc, s8, v6
	v_addc_co_u32_e32 v7, vcc, v7, v2, vcc
	v_and_or_b32 v0, v0, s23, 32
	v_lshlrev_b32_e32 v10, 6, v55
	v_mov_b32_e32 v2, v50
	v_mov_b32_e32 v3, v50
	v_readfirstlane_b32 s8, v6
	v_readfirstlane_b32 s9, v7
	s_nop 4
	global_store_dwordx4 v10, v[0:3], s[8:9]
	s_nop 0
	v_mov_b32_e32 v0, s36
	v_mov_b32_e32 v1, s37
	v_mov_b32_e32 v2, s38
	v_mov_b32_e32 v3, s39
	global_store_dwordx4 v10, v[0:3], s[8:9] offset:16
	global_store_dwordx4 v10, v[0:3], s[8:9] offset:32
	;; [unrolled: 1-line block ×3, first 2 shown]
	s_and_saveexec_b64 s[8:9], s[4:5]
	s_cbranch_execz .LBB5_132
; %bb.125:                              ;   in Loop: Header=BB5_2 Depth=1
	global_load_dwordx2 v[13:14], v50, s[28:29] offset:32 glc
	global_load_dwordx2 v[0:1], v50, s[28:29] offset:40
	v_mov_b32_e32 v11, s6
	v_mov_b32_e32 v12, s7
	s_waitcnt vmcnt(0)
	v_readfirstlane_b32 s10, v0
	v_readfirstlane_b32 s11, v1
	s_and_b64 s[10:11], s[10:11], s[6:7]
	s_mul_i32 s11, s11, 24
	s_mul_hi_u32 s12, s10, 24
	s_mul_i32 s10, s10, 24
	s_add_i32 s11, s12, s11
	v_mov_b32_e32 v0, s11
	v_add_co_u32_e32 v4, vcc, s10, v4
	v_addc_co_u32_e32 v5, vcc, v5, v0, vcc
	global_store_dwordx2 v[4:5], v[13:14], off
	s_waitcnt vmcnt(0)
	global_atomic_cmpswap_x2 v[2:3], v50, v[11:14], s[28:29] offset:32 glc
	s_waitcnt vmcnt(0)
	v_cmp_ne_u64_e32 vcc, v[2:3], v[13:14]
	s_and_saveexec_b64 s[10:11], vcc
	s_cbranch_execz .LBB5_128
; %bb.126:                              ;   in Loop: Header=BB5_2 Depth=1
	s_mov_b64 s[12:13], 0
.LBB5_127:                              ;   Parent Loop BB5_2 Depth=1
                                        ; =>  This Inner Loop Header: Depth=2
	s_sleep 1
	global_store_dwordx2 v[4:5], v[2:3], off
	v_mov_b32_e32 v0, s6
	v_mov_b32_e32 v1, s7
	s_waitcnt vmcnt(0)
	global_atomic_cmpswap_x2 v[0:1], v50, v[0:3], s[28:29] offset:32 glc
	s_waitcnt vmcnt(0)
	v_cmp_eq_u64_e32 vcc, v[0:1], v[2:3]
	v_mov_b32_e32 v3, v1
	s_or_b64 s[12:13], vcc, s[12:13]
	v_mov_b32_e32 v2, v0
	s_andn2_b64 exec, exec, s[12:13]
	s_cbranch_execnz .LBB5_127
.LBB5_128:                              ;   in Loop: Header=BB5_2 Depth=1
	s_or_b64 exec, exec, s[10:11]
	global_load_dwordx2 v[0:1], v50, s[28:29] offset:16
	s_mov_b64 s[12:13], exec
	v_mbcnt_lo_u32_b32 v2, s12, 0
	v_mbcnt_hi_u32_b32 v2, s13, v2
	v_cmp_eq_u32_e32 vcc, 0, v2
	s_and_saveexec_b64 s[10:11], vcc
	s_cbranch_execz .LBB5_130
; %bb.129:                              ;   in Loop: Header=BB5_2 Depth=1
	s_bcnt1_i32_b64 s12, s[12:13]
	v_mov_b32_e32 v49, s12
	s_waitcnt vmcnt(0)
	global_atomic_add_x2 v[0:1], v[49:50], off offset:8
.LBB5_130:                              ;   in Loop: Header=BB5_2 Depth=1
	s_or_b64 exec, exec, s[10:11]
	s_waitcnt vmcnt(0)
	global_load_dwordx2 v[2:3], v[0:1], off offset:16
	s_waitcnt vmcnt(0)
	v_cmp_eq_u64_e32 vcc, 0, v[2:3]
	s_cbranch_vccnz .LBB5_132
; %bb.131:                              ;   in Loop: Header=BB5_2 Depth=1
	global_load_dword v49, v[0:1], off offset:24
	s_waitcnt vmcnt(0)
	v_and_b32_e32 v0, 0xffffff, v49
	v_readfirstlane_b32 m0, v0
	global_store_dwordx2 v[2:3], v[49:50], off
	s_sendmsg sendmsg(MSG_INTERRUPT)
.LBB5_132:                              ;   in Loop: Header=BB5_2 Depth=1
	s_or_b64 exec, exec, s[8:9]
	v_add_co_u32_e32 v0, vcc, v6, v10
	v_addc_co_u32_e32 v1, vcc, 0, v7, vcc
	s_branch .LBB5_136
.LBB5_133:                              ;   in Loop: Header=BB5_136 Depth=2
	s_or_b64 exec, exec, s[8:9]
	v_readfirstlane_b32 s8, v2
	s_cmp_eq_u32 s8, 0
	s_cbranch_scc1 .LBB5_135
; %bb.134:                              ;   in Loop: Header=BB5_136 Depth=2
	s_sleep 1
	s_cbranch_execnz .LBB5_136
	s_branch .LBB5_138
.LBB5_135:                              ;   in Loop: Header=BB5_2 Depth=1
	s_branch .LBB5_138
.LBB5_136:                              ;   Parent Loop BB5_2 Depth=1
                                        ; =>  This Inner Loop Header: Depth=2
	v_mov_b32_e32 v2, 1
	s_and_saveexec_b64 s[8:9], s[4:5]
	s_cbranch_execz .LBB5_133
; %bb.137:                              ;   in Loop: Header=BB5_136 Depth=2
	global_load_dword v2, v[8:9], off offset:20 glc
	s_waitcnt vmcnt(0)
	buffer_wbinvl1_vol
	v_and_b32_e32 v2, 1, v2
	s_branch .LBB5_133
.LBB5_138:                              ;   in Loop: Header=BB5_2 Depth=1
	global_load_dwordx2 v[2:3], v[0:1], off
	s_and_saveexec_b64 s[8:9], s[4:5]
	s_cbranch_execz .LBB5_142
; %bb.139:                              ;   in Loop: Header=BB5_2 Depth=1
	global_load_dwordx2 v[0:1], v50, s[28:29] offset:40
	global_load_dwordx2 v[8:9], v50, s[28:29] offset:24 glc
	global_load_dwordx2 v[10:11], v50, s[28:29]
	v_mov_b32_e32 v5, s7
	s_waitcnt vmcnt(2)
	v_add_co_u32_e32 v6, vcc, 1, v0
	v_addc_co_u32_e32 v7, vcc, 0, v1, vcc
	v_add_co_u32_e32 v4, vcc, s6, v6
	v_addc_co_u32_e32 v5, vcc, v7, v5, vcc
	v_cmp_eq_u64_e32 vcc, 0, v[4:5]
	v_cndmask_b32_e32 v5, v5, v7, vcc
	v_cndmask_b32_e32 v4, v4, v6, vcc
	v_and_b32_e32 v1, v5, v1
	v_and_b32_e32 v0, v4, v0
	v_mul_lo_u32 v1, v1, 24
	v_mul_hi_u32 v7, v0, 24
	v_mul_lo_u32 v0, v0, 24
	s_waitcnt vmcnt(1)
	v_mov_b32_e32 v6, v8
	v_add_u32_e32 v1, v7, v1
	s_waitcnt vmcnt(0)
	v_add_co_u32_e32 v0, vcc, v10, v0
	v_addc_co_u32_e32 v1, vcc, v11, v1, vcc
	global_store_dwordx2 v[0:1], v[8:9], off
	v_mov_b32_e32 v7, v9
	s_waitcnt vmcnt(0)
	global_atomic_cmpswap_x2 v[6:7], v50, v[4:7], s[28:29] offset:24 glc
	s_waitcnt vmcnt(0)
	v_cmp_ne_u64_e32 vcc, v[6:7], v[8:9]
	s_and_b64 exec, exec, vcc
	s_cbranch_execz .LBB5_142
; %bb.140:                              ;   in Loop: Header=BB5_2 Depth=1
	s_mov_b64 s[4:5], 0
.LBB5_141:                              ;   Parent Loop BB5_2 Depth=1
                                        ; =>  This Inner Loop Header: Depth=2
	s_sleep 1
	global_store_dwordx2 v[0:1], v[6:7], off
	s_waitcnt vmcnt(0)
	global_atomic_cmpswap_x2 v[8:9], v50, v[4:7], s[28:29] offset:24 glc
	s_waitcnt vmcnt(0)
	v_cmp_eq_u64_e32 vcc, v[8:9], v[6:7]
	v_mov_b32_e32 v6, v8
	s_or_b64 s[4:5], vcc, s[4:5]
	v_mov_b32_e32 v7, v9
	s_andn2_b64 exec, exec, s[4:5]
	s_cbranch_execnz .LBB5_141
.LBB5_142:                              ;   in Loop: Header=BB5_2 Depth=1
	s_or_b64 exec, exec, s[8:9]
.LBB5_143:                              ;   in Loop: Header=BB5_2 Depth=1
	v_readfirstlane_b32 s4, v55
	s_waitcnt vmcnt(0)
	v_mov_b32_e32 v0, 0
	v_mov_b32_e32 v1, 0
	v_cmp_eq_u32_e64 s[4:5], s4, v55
	s_and_saveexec_b64 s[6:7], s[4:5]
	s_cbranch_execz .LBB5_149
; %bb.144:                              ;   in Loop: Header=BB5_2 Depth=1
	global_load_dwordx2 v[6:7], v50, s[28:29] offset:24 glc
	s_waitcnt vmcnt(0)
	buffer_wbinvl1_vol
	global_load_dwordx2 v[0:1], v50, s[28:29] offset:40
	global_load_dwordx2 v[4:5], v50, s[28:29]
	s_waitcnt vmcnt(1)
	v_and_b32_e32 v0, v0, v6
	v_and_b32_e32 v1, v1, v7
	v_mul_lo_u32 v1, v1, 24
	v_mul_hi_u32 v8, v0, 24
	v_mul_lo_u32 v0, v0, 24
	v_add_u32_e32 v1, v8, v1
	s_waitcnt vmcnt(0)
	v_add_co_u32_e32 v0, vcc, v4, v0
	v_addc_co_u32_e32 v1, vcc, v5, v1, vcc
	global_load_dwordx2 v[4:5], v[0:1], off glc
	s_waitcnt vmcnt(0)
	global_atomic_cmpswap_x2 v[0:1], v50, v[4:7], s[28:29] offset:24 glc
	s_waitcnt vmcnt(0)
	buffer_wbinvl1_vol
	v_cmp_ne_u64_e32 vcc, v[0:1], v[6:7]
	s_and_saveexec_b64 s[8:9], vcc
	s_cbranch_execz .LBB5_148
; %bb.145:                              ;   in Loop: Header=BB5_2 Depth=1
	s_mov_b64 s[10:11], 0
.LBB5_146:                              ;   Parent Loop BB5_2 Depth=1
                                        ; =>  This Inner Loop Header: Depth=2
	s_sleep 1
	global_load_dwordx2 v[4:5], v50, s[28:29] offset:40
	global_load_dwordx2 v[8:9], v50, s[28:29]
	v_mov_b32_e32 v7, v1
	v_mov_b32_e32 v6, v0
	s_waitcnt vmcnt(1)
	v_and_b32_e32 v0, v4, v6
	s_waitcnt vmcnt(0)
	v_mad_u64_u32 v[0:1], s[12:13], v0, 24, v[8:9]
	v_and_b32_e32 v4, v5, v7
	v_mad_u64_u32 v[4:5], s[12:13], v4, 24, v[1:2]
	v_mov_b32_e32 v1, v4
	global_load_dwordx2 v[4:5], v[0:1], off glc
	s_waitcnt vmcnt(0)
	global_atomic_cmpswap_x2 v[0:1], v50, v[4:7], s[28:29] offset:24 glc
	s_waitcnt vmcnt(0)
	buffer_wbinvl1_vol
	v_cmp_eq_u64_e32 vcc, v[0:1], v[6:7]
	s_or_b64 s[10:11], vcc, s[10:11]
	s_andn2_b64 exec, exec, s[10:11]
	s_cbranch_execnz .LBB5_146
; %bb.147:                              ;   in Loop: Header=BB5_2 Depth=1
	s_or_b64 exec, exec, s[10:11]
.LBB5_148:                              ;   in Loop: Header=BB5_2 Depth=1
	s_or_b64 exec, exec, s[8:9]
.LBB5_149:                              ;   in Loop: Header=BB5_2 Depth=1
	s_or_b64 exec, exec, s[6:7]
	global_load_dwordx2 v[4:5], v50, s[28:29] offset:40
	global_load_dwordx4 v[6:9], v50, s[28:29]
	v_readfirstlane_b32 s6, v0
	v_readfirstlane_b32 s7, v1
	s_mov_b64 s[8:9], exec
	s_waitcnt vmcnt(1)
	v_readfirstlane_b32 s10, v4
	v_readfirstlane_b32 s11, v5
	s_and_b64 s[10:11], s[6:7], s[10:11]
	s_mul_i32 s12, s11, 24
	s_mul_hi_u32 s13, s10, 24
	s_mul_i32 s14, s10, 24
	s_add_i32 s12, s13, s12
	v_mov_b32_e32 v0, s12
	s_waitcnt vmcnt(0)
	v_add_co_u32_e32 v10, vcc, s14, v6
	v_addc_co_u32_e32 v11, vcc, v7, v0, vcc
	s_and_saveexec_b64 s[12:13], s[4:5]
	s_cbranch_execz .LBB5_151
; %bb.150:                              ;   in Loop: Header=BB5_2 Depth=1
	v_mov_b32_e32 v52, s9
	v_mov_b32_e32 v51, s8
	global_store_dwordx4 v[10:11], v[51:54], off offset:8
.LBB5_151:                              ;   in Loop: Header=BB5_2 Depth=1
	s_or_b64 exec, exec, s[12:13]
	s_lshl_b64 s[8:9], s[10:11], 12
	v_mov_b32_e32 v0, s9
	v_add_co_u32_e32 v1, vcc, s8, v8
	v_addc_co_u32_e32 v0, vcc, v9, v0, vcc
	v_and_or_b32 v2, v2, s40, 34
	v_ashrrev_i32_e32 v5, 31, v24
	v_lshlrev_b32_e32 v8, 6, v55
	v_mov_b32_e32 v4, v24
	v_readfirstlane_b32 s8, v1
	v_readfirstlane_b32 s9, v0
	s_nop 4
	global_store_dwordx4 v8, v[2:5], s[8:9]
	v_mov_b32_e32 v0, s36
	v_mov_b32_e32 v1, s37
	;; [unrolled: 1-line block ×4, first 2 shown]
	global_store_dwordx4 v8, v[0:3], s[8:9] offset:16
	global_store_dwordx4 v8, v[0:3], s[8:9] offset:32
	;; [unrolled: 1-line block ×3, first 2 shown]
	s_and_saveexec_b64 s[8:9], s[4:5]
	s_cbranch_execz .LBB5_159
; %bb.152:                              ;   in Loop: Header=BB5_2 Depth=1
	global_load_dwordx2 v[14:15], v50, s[28:29] offset:32 glc
	global_load_dwordx2 v[0:1], v50, s[28:29] offset:40
	v_mov_b32_e32 v12, s6
	v_mov_b32_e32 v13, s7
	s_waitcnt vmcnt(0)
	v_readfirstlane_b32 s10, v0
	v_readfirstlane_b32 s11, v1
	s_and_b64 s[10:11], s[10:11], s[6:7]
	s_mul_i32 s11, s11, 24
	s_mul_hi_u32 s12, s10, 24
	s_mul_i32 s10, s10, 24
	s_add_i32 s11, s12, s11
	v_mov_b32_e32 v0, s11
	v_add_co_u32_e32 v4, vcc, s10, v6
	v_addc_co_u32_e32 v5, vcc, v7, v0, vcc
	global_store_dwordx2 v[4:5], v[14:15], off
	s_waitcnt vmcnt(0)
	global_atomic_cmpswap_x2 v[2:3], v50, v[12:15], s[28:29] offset:32 glc
	s_waitcnt vmcnt(0)
	v_cmp_ne_u64_e32 vcc, v[2:3], v[14:15]
	s_and_saveexec_b64 s[10:11], vcc
	s_cbranch_execz .LBB5_155
; %bb.153:                              ;   in Loop: Header=BB5_2 Depth=1
	s_mov_b64 s[12:13], 0
.LBB5_154:                              ;   Parent Loop BB5_2 Depth=1
                                        ; =>  This Inner Loop Header: Depth=2
	s_sleep 1
	global_store_dwordx2 v[4:5], v[2:3], off
	v_mov_b32_e32 v0, s6
	v_mov_b32_e32 v1, s7
	s_waitcnt vmcnt(0)
	global_atomic_cmpswap_x2 v[0:1], v50, v[0:3], s[28:29] offset:32 glc
	s_waitcnt vmcnt(0)
	v_cmp_eq_u64_e32 vcc, v[0:1], v[2:3]
	v_mov_b32_e32 v3, v1
	s_or_b64 s[12:13], vcc, s[12:13]
	v_mov_b32_e32 v2, v0
	s_andn2_b64 exec, exec, s[12:13]
	s_cbranch_execnz .LBB5_154
.LBB5_155:                              ;   in Loop: Header=BB5_2 Depth=1
	s_or_b64 exec, exec, s[10:11]
	global_load_dwordx2 v[0:1], v50, s[28:29] offset:16
	s_mov_b64 s[12:13], exec
	v_mbcnt_lo_u32_b32 v2, s12, 0
	v_mbcnt_hi_u32_b32 v2, s13, v2
	v_cmp_eq_u32_e32 vcc, 0, v2
	s_and_saveexec_b64 s[10:11], vcc
	s_cbranch_execz .LBB5_157
; %bb.156:                              ;   in Loop: Header=BB5_2 Depth=1
	s_bcnt1_i32_b64 s12, s[12:13]
	v_mov_b32_e32 v49, s12
	s_waitcnt vmcnt(0)
	global_atomic_add_x2 v[0:1], v[49:50], off offset:8
.LBB5_157:                              ;   in Loop: Header=BB5_2 Depth=1
	s_or_b64 exec, exec, s[10:11]
	s_waitcnt vmcnt(0)
	global_load_dwordx2 v[2:3], v[0:1], off offset:16
	s_waitcnt vmcnt(0)
	v_cmp_eq_u64_e32 vcc, 0, v[2:3]
	s_cbranch_vccnz .LBB5_159
; %bb.158:                              ;   in Loop: Header=BB5_2 Depth=1
	global_load_dword v49, v[0:1], off offset:24
	s_waitcnt vmcnt(0)
	v_and_b32_e32 v0, 0xffffff, v49
	v_readfirstlane_b32 m0, v0
	global_store_dwordx2 v[2:3], v[49:50], off
	s_sendmsg sendmsg(MSG_INTERRUPT)
.LBB5_159:                              ;   in Loop: Header=BB5_2 Depth=1
	s_or_b64 exec, exec, s[8:9]
	s_branch .LBB5_163
.LBB5_160:                              ;   in Loop: Header=BB5_163 Depth=2
	s_or_b64 exec, exec, s[8:9]
	v_readfirstlane_b32 s8, v0
	s_cmp_eq_u32 s8, 0
	s_cbranch_scc1 .LBB5_162
; %bb.161:                              ;   in Loop: Header=BB5_163 Depth=2
	s_sleep 1
	s_cbranch_execnz .LBB5_163
	s_branch .LBB5_165
.LBB5_162:                              ;   in Loop: Header=BB5_2 Depth=1
	s_branch .LBB5_165
.LBB5_163:                              ;   Parent Loop BB5_2 Depth=1
                                        ; =>  This Inner Loop Header: Depth=2
	v_mov_b32_e32 v0, 1
	s_and_saveexec_b64 s[8:9], s[4:5]
	s_cbranch_execz .LBB5_160
; %bb.164:                              ;   in Loop: Header=BB5_163 Depth=2
	global_load_dword v0, v[10:11], off offset:20 glc
	s_waitcnt vmcnt(0)
	buffer_wbinvl1_vol
	v_and_b32_e32 v0, 1, v0
	s_branch .LBB5_160
.LBB5_165:                              ;   in Loop: Header=BB5_2 Depth=1
	s_and_saveexec_b64 s[8:9], s[4:5]
	s_cbranch_execz .LBB5_1
; %bb.166:                              ;   in Loop: Header=BB5_2 Depth=1
	global_load_dwordx2 v[2:3], v50, s[28:29] offset:40
	global_load_dwordx2 v[6:7], v50, s[28:29] offset:24 glc
	global_load_dwordx2 v[4:5], v50, s[28:29]
	v_mov_b32_e32 v1, s7
	s_waitcnt vmcnt(2)
	v_add_co_u32_e32 v8, vcc, 1, v2
	v_addc_co_u32_e32 v9, vcc, 0, v3, vcc
	v_add_co_u32_e32 v0, vcc, s6, v8
	v_addc_co_u32_e32 v1, vcc, v9, v1, vcc
	v_cmp_eq_u64_e32 vcc, 0, v[0:1]
	v_cndmask_b32_e32 v1, v1, v9, vcc
	v_cndmask_b32_e32 v0, v0, v8, vcc
	v_and_b32_e32 v3, v1, v3
	v_and_b32_e32 v2, v0, v2
	v_mul_lo_u32 v3, v3, 24
	v_mul_hi_u32 v8, v2, 24
	v_mul_lo_u32 v9, v2, 24
	s_waitcnt vmcnt(1)
	v_mov_b32_e32 v2, v6
	v_add_u32_e32 v3, v8, v3
	s_waitcnt vmcnt(0)
	v_add_co_u32_e32 v4, vcc, v4, v9
	v_addc_co_u32_e32 v5, vcc, v5, v3, vcc
	global_store_dwordx2 v[4:5], v[6:7], off
	v_mov_b32_e32 v3, v7
	s_waitcnt vmcnt(0)
	global_atomic_cmpswap_x2 v[2:3], v50, v[0:3], s[28:29] offset:24 glc
	s_waitcnt vmcnt(0)
	v_cmp_ne_u64_e32 vcc, v[2:3], v[6:7]
	s_and_b64 exec, exec, vcc
	s_cbranch_execz .LBB5_1
; %bb.167:                              ;   in Loop: Header=BB5_2 Depth=1
	s_mov_b64 s[4:5], 0
.LBB5_168:                              ;   Parent Loop BB5_2 Depth=1
                                        ; =>  This Inner Loop Header: Depth=2
	s_sleep 1
	global_store_dwordx2 v[4:5], v[2:3], off
	s_waitcnt vmcnt(0)
	global_atomic_cmpswap_x2 v[6:7], v50, v[0:3], s[28:29] offset:24 glc
	s_waitcnt vmcnt(0)
	v_cmp_eq_u64_e32 vcc, v[6:7], v[2:3]
	v_mov_b32_e32 v2, v6
	s_or_b64 s[4:5], vcc, s[4:5]
	v_mov_b32_e32 v3, v7
	s_andn2_b64 exec, exec, s[4:5]
	s_cbranch_execnz .LBB5_168
	s_branch .LBB5_1
.LBB5_169:
	s_getpc_b64 s[34:35]
	s_add_u32 s34, s34, .str.8@rel32@lo+4
	s_addc_u32 s35, s35, .str.8@rel32@hi+12
	s_mov_b64 s[8:9], s[24:25]
	v_mov_b32_e32 v0, s34
	v_mov_b32_e32 v1, s35
	s_getpc_b64 s[36:37]
	s_add_u32 s36, s36, _ZNK8migraphx13basic_printerIZNS_4coutEvEUlT_E_ElsEPKc@rel32@lo+4
	s_addc_u32 s37, s37, _ZNK8migraphx13basic_printerIZNS_4coutEvEUlT_E_ElsEPKc@rel32@hi+12
	s_swappc_b64 s[30:31], s[36:37]
	s_getpc_b64 s[4:5]
	s_add_u32 s4, s4, .str.10@rel32@lo+4
	s_addc_u32 s5, s5, .str.10@rel32@hi+12
	s_mov_b64 s[8:9], s[24:25]
	v_mov_b32_e32 v0, s4
	v_mov_b32_e32 v1, s5
	s_swappc_b64 s[30:31], s[36:37]
	s_mov_b64 s[8:9], s[24:25]
	v_mov_b32_e32 v0, s34
	v_mov_b32_e32 v1, s35
	s_swappc_b64 s[30:31], s[36:37]
	flat_load_dwordx2 v[52:53], v[36:37] offset:8
	s_mov_b32 s35, 0
	v_mov_b32_e32 v38, 0
	s_mov_b32 s36, s35
	s_mov_b32 s37, s35
	;; [unrolled: 1-line block ×4, first 2 shown]
	s_movk_i32 s23, 0xff1f
	s_movk_i32 s40, 0xff1d
	v_mov_b32_e32 v50, 2
	v_mov_b32_e32 v51, 1
	;; [unrolled: 1-line block ×3, first 2 shown]
	s_mov_b32 s34, s35
	s_branch .LBB5_171
.LBB5_170:                              ;   in Loop: Header=BB5_171 Depth=1
	s_or_b64 exec, exec, s[8:9]
	s_add_i32 s34, s34, 1
	s_cmp_lg_u32 s34, 6
	s_cbranch_scc0 .LBB5_338
.LBB5_171:                              ; =>This Loop Header: Depth=1
                                        ;     Child Loop BB5_176 Depth 2
                                        ;     Child Loop BB5_184 Depth 2
	;; [unrolled: 1-line block ×9, first 2 shown]
                                        ;       Child Loop BB5_205 Depth 3
                                        ;       Child Loop BB5_212 Depth 3
	;; [unrolled: 1-line block ×11, first 2 shown]
                                        ;     Child Loop BB5_315 Depth 2
                                        ;     Child Loop BB5_323 Depth 2
	;; [unrolled: 1-line block ×4, first 2 shown]
	s_cmp_eq_u32 s34, 0
	s_cbranch_scc1 .LBB5_173
; %bb.172:                              ;   in Loop: Header=BB5_171 Depth=1
	s_getpc_b64 s[4:5]
	s_add_u32 s4, s4, .str.11@rel32@lo+4
	s_addc_u32 s5, s5, .str.11@rel32@hi+12
	s_mov_b64 s[8:9], s[24:25]
	v_mov_b32_e32 v0, s4
	v_mov_b32_e32 v1, s5
	s_getpc_b64 s[6:7]
	s_add_u32 s6, s6, _ZNK8migraphx13basic_printerIZNS_4coutEvEUlT_E_ElsEPKc@rel32@lo+4
	s_addc_u32 s7, s7, _ZNK8migraphx13basic_printerIZNS_4coutEvEUlT_E_ElsEPKc@rel32@hi+12
	s_swappc_b64 s[30:31], s[6:7]
.LBB5_173:                              ;   in Loop: Header=BB5_171 Depth=1
	s_lshl_b64 s[4:5], s[34:35], 2
	v_mov_b32_e32 v1, s5
	s_waitcnt vmcnt(0) lgkmcnt(0)
	v_add_co_u32_e32 v0, vcc, s4, v52
	v_addc_co_u32_e32 v1, vcc, v53, v1, vcc
	flat_load_dword v24, v[0:1]
	v_readfirstlane_b32 s4, v55
	v_mov_b32_e32 v4, 0
	v_mov_b32_e32 v5, 0
	v_cmp_eq_u32_e64 s[4:5], s4, v55
	s_and_saveexec_b64 s[6:7], s[4:5]
	s_cbranch_execz .LBB5_179
; %bb.174:                              ;   in Loop: Header=BB5_171 Depth=1
	global_load_dwordx2 v[2:3], v38, s[28:29] offset:24 glc
	s_waitcnt vmcnt(0)
	buffer_wbinvl1_vol
	global_load_dwordx2 v[0:1], v38, s[28:29] offset:40
	global_load_dwordx2 v[4:5], v38, s[28:29]
	s_waitcnt vmcnt(0)
	v_and_b32_e32 v0, v0, v2
	v_and_b32_e32 v1, v1, v3
	v_mul_lo_u32 v1, v1, 24
	v_mul_hi_u32 v6, v0, 24
	v_mul_lo_u32 v0, v0, 24
	v_add_u32_e32 v1, v6, v1
	v_add_co_u32_e32 v0, vcc, v4, v0
	v_addc_co_u32_e32 v1, vcc, v5, v1, vcc
	global_load_dwordx2 v[0:1], v[0:1], off glc
	s_waitcnt vmcnt(0)
	global_atomic_cmpswap_x2 v[4:5], v38, v[0:3], s[28:29] offset:24 glc
	s_waitcnt vmcnt(0)
	buffer_wbinvl1_vol
	v_cmp_ne_u64_e32 vcc, v[4:5], v[2:3]
	s_and_saveexec_b64 s[8:9], vcc
	s_cbranch_execz .LBB5_178
; %bb.175:                              ;   in Loop: Header=BB5_171 Depth=1
	s_mov_b64 s[10:11], 0
.LBB5_176:                              ;   Parent Loop BB5_171 Depth=1
                                        ; =>  This Inner Loop Header: Depth=2
	s_sleep 1
	global_load_dwordx2 v[0:1], v38, s[28:29] offset:40
	global_load_dwordx2 v[6:7], v38, s[28:29]
	v_mov_b32_e32 v2, v4
	v_mov_b32_e32 v3, v5
	s_waitcnt vmcnt(0)
	v_and_b32_e32 v0, v0, v2
	v_mad_u64_u32 v[4:5], s[12:13], v0, 24, v[6:7]
	v_and_b32_e32 v1, v1, v3
	v_mov_b32_e32 v0, v5
	v_mad_u64_u32 v[0:1], s[12:13], v1, 24, v[0:1]
	v_mov_b32_e32 v5, v0
	global_load_dwordx2 v[0:1], v[4:5], off glc
	s_waitcnt vmcnt(0)
	global_atomic_cmpswap_x2 v[4:5], v38, v[0:3], s[28:29] offset:24 glc
	s_waitcnt vmcnt(0)
	buffer_wbinvl1_vol
	v_cmp_eq_u64_e32 vcc, v[4:5], v[2:3]
	s_or_b64 s[10:11], vcc, s[10:11]
	s_andn2_b64 exec, exec, s[10:11]
	s_cbranch_execnz .LBB5_176
; %bb.177:                              ;   in Loop: Header=BB5_171 Depth=1
	s_or_b64 exec, exec, s[10:11]
.LBB5_178:                              ;   in Loop: Header=BB5_171 Depth=1
	s_or_b64 exec, exec, s[8:9]
.LBB5_179:                              ;   in Loop: Header=BB5_171 Depth=1
	s_or_b64 exec, exec, s[6:7]
	global_load_dwordx2 v[6:7], v38, s[28:29] offset:40
	global_load_dwordx4 v[0:3], v38, s[28:29]
	v_readfirstlane_b32 s6, v4
	v_readfirstlane_b32 s7, v5
	s_mov_b64 s[8:9], exec
	s_waitcnt vmcnt(0)
	v_readfirstlane_b32 s10, v6
	v_readfirstlane_b32 s11, v7
	s_and_b64 s[10:11], s[6:7], s[10:11]
	s_mul_i32 s12, s11, 24
	s_mul_hi_u32 s13, s10, 24
	s_mul_i32 s14, s10, 24
	s_add_i32 s12, s13, s12
	v_mov_b32_e32 v5, s12
	v_add_co_u32_e32 v4, vcc, s14, v0
	v_addc_co_u32_e32 v5, vcc, v1, v5, vcc
	s_and_saveexec_b64 s[12:13], s[4:5]
	s_cbranch_execz .LBB5_181
; %bb.180:                              ;   in Loop: Header=BB5_171 Depth=1
	v_mov_b32_e32 v49, s9
	v_mov_b32_e32 v48, s8
	global_store_dwordx4 v[4:5], v[48:51], off offset:8
.LBB5_181:                              ;   in Loop: Header=BB5_171 Depth=1
	s_or_b64 exec, exec, s[12:13]
	s_lshl_b64 s[8:9], s[10:11], 12
	v_mov_b32_e32 v6, s9
	v_add_co_u32_e32 v8, vcc, s8, v2
	v_addc_co_u32_e32 v9, vcc, v3, v6, vcc
	v_mov_b32_e32 v10, s36
	v_mov_b32_e32 v37, v38
	;; [unrolled: 1-line block ×3, first 2 shown]
	v_readfirstlane_b32 s8, v8
	v_readfirstlane_b32 s9, v9
	v_mov_b32_e32 v11, s37
	v_mov_b32_e32 v12, s38
	;; [unrolled: 1-line block ×3, first 2 shown]
	s_nop 1
	global_store_dwordx4 v40, v[36:39], s[8:9]
	global_store_dwordx4 v40, v[10:13], s[8:9] offset:16
	global_store_dwordx4 v40, v[10:13], s[8:9] offset:32
	global_store_dwordx4 v40, v[10:13], s[8:9] offset:48
	s_and_saveexec_b64 s[8:9], s[4:5]
	s_cbranch_execz .LBB5_189
; %bb.182:                              ;   in Loop: Header=BB5_171 Depth=1
	global_load_dwordx2 v[12:13], v38, s[28:29] offset:32 glc
	global_load_dwordx2 v[2:3], v38, s[28:29] offset:40
	v_mov_b32_e32 v10, s6
	v_mov_b32_e32 v11, s7
	s_waitcnt vmcnt(0)
	v_readfirstlane_b32 s10, v2
	v_readfirstlane_b32 s11, v3
	s_and_b64 s[10:11], s[10:11], s[6:7]
	s_mul_i32 s11, s11, 24
	s_mul_hi_u32 s12, s10, 24
	s_mul_i32 s10, s10, 24
	s_add_i32 s11, s12, s11
	v_mov_b32_e32 v2, s11
	v_add_co_u32_e32 v6, vcc, s10, v0
	v_addc_co_u32_e32 v7, vcc, v1, v2, vcc
	global_store_dwordx2 v[6:7], v[12:13], off
	s_waitcnt vmcnt(0)
	global_atomic_cmpswap_x2 v[2:3], v38, v[10:13], s[28:29] offset:32 glc
	s_waitcnt vmcnt(0)
	v_cmp_ne_u64_e32 vcc, v[2:3], v[12:13]
	s_and_saveexec_b64 s[10:11], vcc
	s_cbranch_execz .LBB5_185
; %bb.183:                              ;   in Loop: Header=BB5_171 Depth=1
	s_mov_b64 s[12:13], 0
.LBB5_184:                              ;   Parent Loop BB5_171 Depth=1
                                        ; =>  This Inner Loop Header: Depth=2
	s_sleep 1
	global_store_dwordx2 v[6:7], v[2:3], off
	v_mov_b32_e32 v0, s6
	v_mov_b32_e32 v1, s7
	s_waitcnt vmcnt(0)
	global_atomic_cmpswap_x2 v[0:1], v38, v[0:3], s[28:29] offset:32 glc
	s_waitcnt vmcnt(0)
	v_cmp_eq_u64_e32 vcc, v[0:1], v[2:3]
	v_mov_b32_e32 v3, v1
	s_or_b64 s[12:13], vcc, s[12:13]
	v_mov_b32_e32 v2, v0
	s_andn2_b64 exec, exec, s[12:13]
	s_cbranch_execnz .LBB5_184
.LBB5_185:                              ;   in Loop: Header=BB5_171 Depth=1
	s_or_b64 exec, exec, s[10:11]
	global_load_dwordx2 v[0:1], v38, s[28:29] offset:16
	s_mov_b64 s[12:13], exec
	v_mbcnt_lo_u32_b32 v2, s12, 0
	v_mbcnt_hi_u32_b32 v2, s13, v2
	v_cmp_eq_u32_e32 vcc, 0, v2
	s_and_saveexec_b64 s[10:11], vcc
	s_cbranch_execz .LBB5_187
; %bb.186:                              ;   in Loop: Header=BB5_171 Depth=1
	s_bcnt1_i32_b64 s12, s[12:13]
	v_mov_b32_e32 v37, s12
	s_waitcnt vmcnt(0)
	global_atomic_add_x2 v[0:1], v[37:38], off offset:8
.LBB5_187:                              ;   in Loop: Header=BB5_171 Depth=1
	s_or_b64 exec, exec, s[10:11]
	s_waitcnt vmcnt(0)
	global_load_dwordx2 v[2:3], v[0:1], off offset:16
	s_waitcnt vmcnt(0)
	v_cmp_eq_u64_e32 vcc, 0, v[2:3]
	s_cbranch_vccnz .LBB5_189
; %bb.188:                              ;   in Loop: Header=BB5_171 Depth=1
	global_load_dword v37, v[0:1], off offset:24
	s_waitcnt vmcnt(0)
	v_and_b32_e32 v0, 0xffffff, v37
	v_readfirstlane_b32 m0, v0
	global_store_dwordx2 v[2:3], v[37:38], off
	s_sendmsg sendmsg(MSG_INTERRUPT)
.LBB5_189:                              ;   in Loop: Header=BB5_171 Depth=1
	s_or_b64 exec, exec, s[8:9]
	v_add_co_u32_e32 v0, vcc, v8, v40
	v_addc_co_u32_e32 v1, vcc, 0, v9, vcc
	s_branch .LBB5_193
.LBB5_190:                              ;   in Loop: Header=BB5_193 Depth=2
	s_or_b64 exec, exec, s[8:9]
	v_readfirstlane_b32 s8, v2
	s_cmp_eq_u32 s8, 0
	s_cbranch_scc1 .LBB5_192
; %bb.191:                              ;   in Loop: Header=BB5_193 Depth=2
	s_sleep 1
	s_cbranch_execnz .LBB5_193
	s_branch .LBB5_195
.LBB5_192:                              ;   in Loop: Header=BB5_171 Depth=1
	s_branch .LBB5_195
.LBB5_193:                              ;   Parent Loop BB5_171 Depth=1
                                        ; =>  This Inner Loop Header: Depth=2
	v_mov_b32_e32 v2, 1
	s_and_saveexec_b64 s[8:9], s[4:5]
	s_cbranch_execz .LBB5_190
; %bb.194:                              ;   in Loop: Header=BB5_193 Depth=2
	global_load_dword v2, v[4:5], off offset:20 glc
	s_waitcnt vmcnt(0)
	buffer_wbinvl1_vol
	v_and_b32_e32 v2, 1, v2
	s_branch .LBB5_190
.LBB5_195:                              ;   in Loop: Header=BB5_171 Depth=1
	global_load_dwordx2 v[0:1], v[0:1], off
	s_and_saveexec_b64 s[8:9], s[4:5]
	s_cbranch_execz .LBB5_199
; %bb.196:                              ;   in Loop: Header=BB5_171 Depth=1
	global_load_dwordx2 v[4:5], v38, s[28:29] offset:40
	global_load_dwordx2 v[8:9], v38, s[28:29] offset:24 glc
	global_load_dwordx2 v[6:7], v38, s[28:29]
	v_mov_b32_e32 v3, s7
	s_waitcnt vmcnt(0)
	v_add_co_u32_e32 v10, vcc, 1, v4
	v_addc_co_u32_e32 v11, vcc, 0, v5, vcc
	v_add_co_u32_e32 v2, vcc, s6, v10
	v_addc_co_u32_e32 v3, vcc, v11, v3, vcc
	v_cmp_eq_u64_e32 vcc, 0, v[2:3]
	v_cndmask_b32_e32 v3, v3, v11, vcc
	v_cndmask_b32_e32 v2, v2, v10, vcc
	v_and_b32_e32 v5, v3, v5
	v_and_b32_e32 v4, v2, v4
	v_mul_lo_u32 v5, v5, 24
	v_mul_hi_u32 v10, v4, 24
	v_mul_lo_u32 v11, v4, 24
	v_mov_b32_e32 v4, v8
	v_add_u32_e32 v5, v10, v5
	v_add_co_u32_e32 v6, vcc, v6, v11
	v_addc_co_u32_e32 v7, vcc, v7, v5, vcc
	global_store_dwordx2 v[6:7], v[8:9], off
	v_mov_b32_e32 v5, v9
	s_waitcnt vmcnt(0)
	global_atomic_cmpswap_x2 v[4:5], v38, v[2:5], s[28:29] offset:24 glc
	s_waitcnt vmcnt(0)
	v_cmp_ne_u64_e32 vcc, v[4:5], v[8:9]
	s_and_b64 exec, exec, vcc
	s_cbranch_execz .LBB5_199
; %bb.197:                              ;   in Loop: Header=BB5_171 Depth=1
	s_mov_b64 s[4:5], 0
.LBB5_198:                              ;   Parent Loop BB5_171 Depth=1
                                        ; =>  This Inner Loop Header: Depth=2
	s_sleep 1
	global_store_dwordx2 v[6:7], v[4:5], off
	s_waitcnt vmcnt(0)
	global_atomic_cmpswap_x2 v[8:9], v38, v[2:5], s[28:29] offset:24 glc
	s_waitcnt vmcnt(0)
	v_cmp_eq_u64_e32 vcc, v[8:9], v[4:5]
	v_mov_b32_e32 v4, v8
	s_or_b64 s[4:5], vcc, s[4:5]
	v_mov_b32_e32 v5, v9
	s_andn2_b64 exec, exec, s[4:5]
	s_cbranch_execnz .LBB5_198
.LBB5_199:                              ;   in Loop: Header=BB5_171 Depth=1
	s_or_b64 exec, exec, s[8:9]
	s_and_b64 vcc, exec, s[26:27]
	s_cbranch_vccz .LBB5_284
; %bb.200:                              ;   in Loop: Header=BB5_171 Depth=1
	s_waitcnt vmcnt(0)
	v_and_b32_e32 v25, 2, v0
	v_and_b32_e32 v2, -3, v0
	v_mov_b32_e32 v3, v1
	s_mov_b64 s[8:9], 4
	s_getpc_b64 s[6:7]
	s_add_u32 s6, s6, .str.7@rel32@lo+4
	s_addc_u32 s7, s7, .str.7@rel32@hi+12
	s_branch .LBB5_202
.LBB5_201:                              ;   in Loop: Header=BB5_202 Depth=2
	s_or_b64 exec, exec, s[14:15]
	s_sub_u32 s8, s8, s10
	s_subb_u32 s9, s9, s11
	s_add_u32 s6, s6, s10
	s_addc_u32 s7, s7, s11
	s_cmp_lg_u64 s[8:9], 0
	s_cbranch_scc0 .LBB5_283
.LBB5_202:                              ;   Parent Loop BB5_171 Depth=1
                                        ; =>  This Loop Header: Depth=2
                                        ;       Child Loop BB5_205 Depth 3
                                        ;       Child Loop BB5_212 Depth 3
                                        ;       Child Loop BB5_220 Depth 3
                                        ;       Child Loop BB5_228 Depth 3
                                        ;       Child Loop BB5_236 Depth 3
                                        ;       Child Loop BB5_244 Depth 3
                                        ;       Child Loop BB5_252 Depth 3
                                        ;       Child Loop BB5_260 Depth 3
                                        ;       Child Loop BB5_268 Depth 3
                                        ;       Child Loop BB5_277 Depth 3
                                        ;       Child Loop BB5_282 Depth 3
	v_cmp_lt_u64_e64 s[4:5], s[8:9], 56
	v_cmp_gt_u64_e64 s[12:13], s[8:9], 7
	s_and_b64 s[4:5], s[4:5], exec
	s_cselect_b32 s11, s9, 0
	s_cselect_b32 s10, s8, 56
	s_and_b64 vcc, exec, s[12:13]
	s_cbranch_vccnz .LBB5_207
; %bb.203:                              ;   in Loop: Header=BB5_202 Depth=2
	s_waitcnt vmcnt(0)
	v_mov_b32_e32 v4, 0
	s_cmp_eq_u64 s[8:9], 0
	v_mov_b32_e32 v5, 0
	s_mov_b64 s[4:5], 0
	s_cbranch_scc1 .LBB5_206
; %bb.204:                              ;   in Loop: Header=BB5_202 Depth=2
	v_mov_b32_e32 v4, 0
	s_lshl_b64 s[12:13], s[10:11], 3
	s_mov_b64 s[14:15], 0
	v_mov_b32_e32 v5, 0
	s_mov_b64 s[16:17], s[6:7]
.LBB5_205:                              ;   Parent Loop BB5_171 Depth=1
                                        ;     Parent Loop BB5_202 Depth=2
                                        ; =>    This Inner Loop Header: Depth=3
	global_load_ubyte v6, v38, s[16:17]
	s_waitcnt vmcnt(0)
	v_and_b32_e32 v37, 0xffff, v6
	v_lshlrev_b64 v[6:7], s14, v[37:38]
	s_add_u32 s14, s14, 8
	s_addc_u32 s15, s15, 0
	s_add_u32 s16, s16, 1
	s_addc_u32 s17, s17, 0
	v_or_b32_e32 v4, v6, v4
	s_cmp_lg_u32 s12, s14
	v_or_b32_e32 v5, v7, v5
	s_cbranch_scc1 .LBB5_205
.LBB5_206:                              ;   in Loop: Header=BB5_202 Depth=2
	s_mov_b32 s16, 0
	s_andn2_b64 vcc, exec, s[4:5]
	s_mov_b64 s[4:5], s[6:7]
	s_cbranch_vccz .LBB5_208
	s_branch .LBB5_209
.LBB5_207:                              ;   in Loop: Header=BB5_202 Depth=2
                                        ; implicit-def: $vgpr4_vgpr5
                                        ; implicit-def: $sgpr16
	s_mov_b64 s[4:5], s[6:7]
.LBB5_208:                              ;   in Loop: Header=BB5_202 Depth=2
	global_load_dwordx2 v[4:5], v38, s[6:7]
	s_add_i32 s16, s10, -8
	s_add_u32 s4, s6, 8
	s_addc_u32 s5, s7, 0
.LBB5_209:                              ;   in Loop: Header=BB5_202 Depth=2
	s_cmp_gt_u32 s16, 7
	s_cbranch_scc1 .LBB5_213
; %bb.210:                              ;   in Loop: Header=BB5_202 Depth=2
	s_cmp_eq_u32 s16, 0
	s_cbranch_scc1 .LBB5_214
; %bb.211:                              ;   in Loop: Header=BB5_202 Depth=2
	v_mov_b32_e32 v6, 0
	s_mov_b64 s[12:13], 0
	v_mov_b32_e32 v7, 0
	s_mov_b64 s[14:15], 0
.LBB5_212:                              ;   Parent Loop BB5_171 Depth=1
                                        ;     Parent Loop BB5_202 Depth=2
                                        ; =>    This Inner Loop Header: Depth=3
	s_add_u32 s18, s4, s14
	s_addc_u32 s19, s5, s15
	global_load_ubyte v8, v38, s[18:19]
	s_add_u32 s14, s14, 1
	s_addc_u32 s15, s15, 0
	s_waitcnt vmcnt(0)
	v_and_b32_e32 v37, 0xffff, v8
	v_lshlrev_b64 v[8:9], s12, v[37:38]
	s_add_u32 s12, s12, 8
	s_addc_u32 s13, s13, 0
	v_or_b32_e32 v6, v8, v6
	s_cmp_lg_u32 s16, s14
	v_or_b32_e32 v7, v9, v7
	s_cbranch_scc1 .LBB5_212
	s_branch .LBB5_215
.LBB5_213:                              ;   in Loop: Header=BB5_202 Depth=2
                                        ; implicit-def: $vgpr6_vgpr7
                                        ; implicit-def: $sgpr17
	s_branch .LBB5_216
.LBB5_214:                              ;   in Loop: Header=BB5_202 Depth=2
	v_mov_b32_e32 v6, 0
	v_mov_b32_e32 v7, 0
.LBB5_215:                              ;   in Loop: Header=BB5_202 Depth=2
	s_mov_b32 s17, 0
	s_cbranch_execnz .LBB5_217
.LBB5_216:                              ;   in Loop: Header=BB5_202 Depth=2
	global_load_dwordx2 v[6:7], v38, s[4:5]
	s_add_i32 s17, s16, -8
	s_add_u32 s4, s4, 8
	s_addc_u32 s5, s5, 0
.LBB5_217:                              ;   in Loop: Header=BB5_202 Depth=2
	s_cmp_gt_u32 s17, 7
	s_cbranch_scc1 .LBB5_221
; %bb.218:                              ;   in Loop: Header=BB5_202 Depth=2
	s_cmp_eq_u32 s17, 0
	s_cbranch_scc1 .LBB5_222
; %bb.219:                              ;   in Loop: Header=BB5_202 Depth=2
	v_mov_b32_e32 v8, 0
	s_mov_b64 s[12:13], 0
	v_mov_b32_e32 v9, 0
	s_mov_b64 s[14:15], 0
.LBB5_220:                              ;   Parent Loop BB5_171 Depth=1
                                        ;     Parent Loop BB5_202 Depth=2
                                        ; =>    This Inner Loop Header: Depth=3
	s_add_u32 s18, s4, s14
	s_addc_u32 s19, s5, s15
	global_load_ubyte v10, v38, s[18:19]
	s_add_u32 s14, s14, 1
	s_addc_u32 s15, s15, 0
	s_waitcnt vmcnt(0)
	v_and_b32_e32 v37, 0xffff, v10
	v_lshlrev_b64 v[10:11], s12, v[37:38]
	s_add_u32 s12, s12, 8
	s_addc_u32 s13, s13, 0
	v_or_b32_e32 v8, v10, v8
	s_cmp_lg_u32 s17, s14
	v_or_b32_e32 v9, v11, v9
	s_cbranch_scc1 .LBB5_220
	s_branch .LBB5_223
.LBB5_221:                              ;   in Loop: Header=BB5_202 Depth=2
                                        ; implicit-def: $sgpr16
	s_branch .LBB5_224
.LBB5_222:                              ;   in Loop: Header=BB5_202 Depth=2
	v_mov_b32_e32 v8, 0
	v_mov_b32_e32 v9, 0
.LBB5_223:                              ;   in Loop: Header=BB5_202 Depth=2
	s_mov_b32 s16, 0
	s_cbranch_execnz .LBB5_225
.LBB5_224:                              ;   in Loop: Header=BB5_202 Depth=2
	global_load_dwordx2 v[8:9], v38, s[4:5]
	s_add_i32 s16, s17, -8
	s_add_u32 s4, s4, 8
	s_addc_u32 s5, s5, 0
.LBB5_225:                              ;   in Loop: Header=BB5_202 Depth=2
	s_cmp_gt_u32 s16, 7
	s_cbranch_scc1 .LBB5_229
; %bb.226:                              ;   in Loop: Header=BB5_202 Depth=2
	s_cmp_eq_u32 s16, 0
	s_cbranch_scc1 .LBB5_230
; %bb.227:                              ;   in Loop: Header=BB5_202 Depth=2
	v_mov_b32_e32 v10, 0
	s_mov_b64 s[12:13], 0
	v_mov_b32_e32 v11, 0
	s_mov_b64 s[14:15], 0
.LBB5_228:                              ;   Parent Loop BB5_171 Depth=1
                                        ;     Parent Loop BB5_202 Depth=2
                                        ; =>    This Inner Loop Header: Depth=3
	s_add_u32 s18, s4, s14
	s_addc_u32 s19, s5, s15
	global_load_ubyte v12, v38, s[18:19]
	s_add_u32 s14, s14, 1
	s_addc_u32 s15, s15, 0
	s_waitcnt vmcnt(0)
	v_and_b32_e32 v37, 0xffff, v12
	v_lshlrev_b64 v[12:13], s12, v[37:38]
	s_add_u32 s12, s12, 8
	s_addc_u32 s13, s13, 0
	v_or_b32_e32 v10, v12, v10
	s_cmp_lg_u32 s16, s14
	v_or_b32_e32 v11, v13, v11
	s_cbranch_scc1 .LBB5_228
	s_branch .LBB5_231
.LBB5_229:                              ;   in Loop: Header=BB5_202 Depth=2
                                        ; implicit-def: $vgpr10_vgpr11
                                        ; implicit-def: $sgpr17
	s_branch .LBB5_232
.LBB5_230:                              ;   in Loop: Header=BB5_202 Depth=2
	v_mov_b32_e32 v10, 0
	v_mov_b32_e32 v11, 0
.LBB5_231:                              ;   in Loop: Header=BB5_202 Depth=2
	s_mov_b32 s17, 0
	s_cbranch_execnz .LBB5_233
.LBB5_232:                              ;   in Loop: Header=BB5_202 Depth=2
	global_load_dwordx2 v[10:11], v38, s[4:5]
	s_add_i32 s17, s16, -8
	s_add_u32 s4, s4, 8
	s_addc_u32 s5, s5, 0
.LBB5_233:                              ;   in Loop: Header=BB5_202 Depth=2
	s_cmp_gt_u32 s17, 7
	s_cbranch_scc1 .LBB5_237
; %bb.234:                              ;   in Loop: Header=BB5_202 Depth=2
	s_cmp_eq_u32 s17, 0
	s_cbranch_scc1 .LBB5_238
; %bb.235:                              ;   in Loop: Header=BB5_202 Depth=2
	v_mov_b32_e32 v12, 0
	s_mov_b64 s[12:13], 0
	v_mov_b32_e32 v13, 0
	s_mov_b64 s[14:15], 0
.LBB5_236:                              ;   Parent Loop BB5_171 Depth=1
                                        ;     Parent Loop BB5_202 Depth=2
                                        ; =>    This Inner Loop Header: Depth=3
	s_add_u32 s18, s4, s14
	s_addc_u32 s19, s5, s15
	global_load_ubyte v14, v38, s[18:19]
	s_add_u32 s14, s14, 1
	s_addc_u32 s15, s15, 0
	s_waitcnt vmcnt(0)
	v_and_b32_e32 v37, 0xffff, v14
	v_lshlrev_b64 v[14:15], s12, v[37:38]
	s_add_u32 s12, s12, 8
	s_addc_u32 s13, s13, 0
	v_or_b32_e32 v12, v14, v12
	s_cmp_lg_u32 s17, s14
	v_or_b32_e32 v13, v15, v13
	s_cbranch_scc1 .LBB5_236
	s_branch .LBB5_239
.LBB5_237:                              ;   in Loop: Header=BB5_202 Depth=2
                                        ; implicit-def: $sgpr16
	s_branch .LBB5_240
.LBB5_238:                              ;   in Loop: Header=BB5_202 Depth=2
	v_mov_b32_e32 v12, 0
	v_mov_b32_e32 v13, 0
.LBB5_239:                              ;   in Loop: Header=BB5_202 Depth=2
	s_mov_b32 s16, 0
	s_cbranch_execnz .LBB5_241
.LBB5_240:                              ;   in Loop: Header=BB5_202 Depth=2
	global_load_dwordx2 v[12:13], v38, s[4:5]
	s_add_i32 s16, s17, -8
	s_add_u32 s4, s4, 8
	s_addc_u32 s5, s5, 0
.LBB5_241:                              ;   in Loop: Header=BB5_202 Depth=2
	s_cmp_gt_u32 s16, 7
	s_cbranch_scc1 .LBB5_245
; %bb.242:                              ;   in Loop: Header=BB5_202 Depth=2
	s_cmp_eq_u32 s16, 0
	s_cbranch_scc1 .LBB5_246
; %bb.243:                              ;   in Loop: Header=BB5_202 Depth=2
	v_mov_b32_e32 v14, 0
	s_mov_b64 s[12:13], 0
	v_mov_b32_e32 v15, 0
	s_mov_b64 s[14:15], 0
.LBB5_244:                              ;   Parent Loop BB5_171 Depth=1
                                        ;     Parent Loop BB5_202 Depth=2
                                        ; =>    This Inner Loop Header: Depth=3
	s_add_u32 s18, s4, s14
	s_addc_u32 s19, s5, s15
	global_load_ubyte v16, v38, s[18:19]
	s_add_u32 s14, s14, 1
	s_addc_u32 s15, s15, 0
	s_waitcnt vmcnt(0)
	v_and_b32_e32 v37, 0xffff, v16
	v_lshlrev_b64 v[16:17], s12, v[37:38]
	s_add_u32 s12, s12, 8
	s_addc_u32 s13, s13, 0
	v_or_b32_e32 v14, v16, v14
	s_cmp_lg_u32 s16, s14
	v_or_b32_e32 v15, v17, v15
	s_cbranch_scc1 .LBB5_244
	s_branch .LBB5_247
.LBB5_245:                              ;   in Loop: Header=BB5_202 Depth=2
                                        ; implicit-def: $vgpr14_vgpr15
                                        ; implicit-def: $sgpr17
	s_branch .LBB5_248
.LBB5_246:                              ;   in Loop: Header=BB5_202 Depth=2
	v_mov_b32_e32 v14, 0
	v_mov_b32_e32 v15, 0
.LBB5_247:                              ;   in Loop: Header=BB5_202 Depth=2
	s_mov_b32 s17, 0
	s_cbranch_execnz .LBB5_249
.LBB5_248:                              ;   in Loop: Header=BB5_202 Depth=2
	global_load_dwordx2 v[14:15], v38, s[4:5]
	s_add_i32 s17, s16, -8
	s_add_u32 s4, s4, 8
	s_addc_u32 s5, s5, 0
.LBB5_249:                              ;   in Loop: Header=BB5_202 Depth=2
	s_cmp_gt_u32 s17, 7
	s_cbranch_scc1 .LBB5_253
; %bb.250:                              ;   in Loop: Header=BB5_202 Depth=2
	s_cmp_eq_u32 s17, 0
	s_cbranch_scc1 .LBB5_254
; %bb.251:                              ;   in Loop: Header=BB5_202 Depth=2
	v_mov_b32_e32 v16, 0
	s_mov_b64 s[12:13], 0
	v_mov_b32_e32 v17, 0
	s_mov_b64 s[14:15], s[4:5]
.LBB5_252:                              ;   Parent Loop BB5_171 Depth=1
                                        ;     Parent Loop BB5_202 Depth=2
                                        ; =>    This Inner Loop Header: Depth=3
	global_load_ubyte v18, v38, s[14:15]
	s_add_i32 s17, s17, -1
	s_waitcnt vmcnt(0)
	v_and_b32_e32 v37, 0xffff, v18
	v_lshlrev_b64 v[18:19], s12, v[37:38]
	s_add_u32 s12, s12, 8
	s_addc_u32 s13, s13, 0
	s_add_u32 s14, s14, 1
	s_addc_u32 s15, s15, 0
	v_or_b32_e32 v16, v18, v16
	s_cmp_lg_u32 s17, 0
	v_or_b32_e32 v17, v19, v17
	s_cbranch_scc1 .LBB5_252
	s_branch .LBB5_255
.LBB5_253:                              ;   in Loop: Header=BB5_202 Depth=2
	s_branch .LBB5_256
.LBB5_254:                              ;   in Loop: Header=BB5_202 Depth=2
	v_mov_b32_e32 v16, 0
	v_mov_b32_e32 v17, 0
.LBB5_255:                              ;   in Loop: Header=BB5_202 Depth=2
	s_cbranch_execnz .LBB5_257
.LBB5_256:                              ;   in Loop: Header=BB5_202 Depth=2
	global_load_dwordx2 v[16:17], v38, s[4:5]
.LBB5_257:                              ;   in Loop: Header=BB5_202 Depth=2
	v_readfirstlane_b32 s4, v55
	v_mov_b32_e32 v22, 0
	v_mov_b32_e32 v23, 0
	v_cmp_eq_u32_e64 s[4:5], s4, v55
	s_and_saveexec_b64 s[12:13], s[4:5]
	s_cbranch_execz .LBB5_263
; %bb.258:                              ;   in Loop: Header=BB5_202 Depth=2
	global_load_dwordx2 v[20:21], v38, s[28:29] offset:24 glc
	s_waitcnt vmcnt(0)
	buffer_wbinvl1_vol
	global_load_dwordx2 v[18:19], v38, s[28:29] offset:40
	global_load_dwordx2 v[22:23], v38, s[28:29]
	s_waitcnt vmcnt(0)
	v_and_b32_e32 v18, v18, v20
	v_and_b32_e32 v19, v19, v21
	v_mul_lo_u32 v19, v19, 24
	v_mul_hi_u32 v26, v18, 24
	v_mul_lo_u32 v18, v18, 24
	v_add_u32_e32 v19, v26, v19
	v_add_co_u32_e32 v18, vcc, v22, v18
	v_addc_co_u32_e32 v19, vcc, v23, v19, vcc
	global_load_dwordx2 v[18:19], v[18:19], off glc
	s_waitcnt vmcnt(0)
	global_atomic_cmpswap_x2 v[22:23], v38, v[18:21], s[28:29] offset:24 glc
	s_waitcnt vmcnt(0)
	buffer_wbinvl1_vol
	v_cmp_ne_u64_e32 vcc, v[22:23], v[20:21]
	s_and_saveexec_b64 s[14:15], vcc
	s_cbranch_execz .LBB5_262
; %bb.259:                              ;   in Loop: Header=BB5_202 Depth=2
	s_mov_b64 s[16:17], 0
.LBB5_260:                              ;   Parent Loop BB5_171 Depth=1
                                        ;     Parent Loop BB5_202 Depth=2
                                        ; =>    This Inner Loop Header: Depth=3
	s_sleep 1
	global_load_dwordx2 v[18:19], v38, s[28:29] offset:40
	global_load_dwordx2 v[26:27], v38, s[28:29]
	v_mov_b32_e32 v20, v22
	v_mov_b32_e32 v21, v23
	s_waitcnt vmcnt(0)
	v_and_b32_e32 v18, v18, v20
	v_mad_u64_u32 v[22:23], s[18:19], v18, 24, v[26:27]
	v_and_b32_e32 v19, v19, v21
	v_mov_b32_e32 v18, v23
	v_mad_u64_u32 v[18:19], s[18:19], v19, 24, v[18:19]
	v_mov_b32_e32 v23, v18
	global_load_dwordx2 v[18:19], v[22:23], off glc
	s_waitcnt vmcnt(0)
	global_atomic_cmpswap_x2 v[22:23], v38, v[18:21], s[28:29] offset:24 glc
	s_waitcnt vmcnt(0)
	buffer_wbinvl1_vol
	v_cmp_eq_u64_e32 vcc, v[22:23], v[20:21]
	s_or_b64 s[16:17], vcc, s[16:17]
	s_andn2_b64 exec, exec, s[16:17]
	s_cbranch_execnz .LBB5_260
; %bb.261:                              ;   in Loop: Header=BB5_202 Depth=2
	s_or_b64 exec, exec, s[16:17]
.LBB5_262:                              ;   in Loop: Header=BB5_202 Depth=2
	s_or_b64 exec, exec, s[14:15]
.LBB5_263:                              ;   in Loop: Header=BB5_202 Depth=2
	s_or_b64 exec, exec, s[12:13]
	global_load_dwordx2 v[26:27], v38, s[28:29] offset:40
	global_load_dwordx4 v[18:21], v38, s[28:29]
	v_readfirstlane_b32 s12, v22
	v_readfirstlane_b32 s13, v23
	s_mov_b64 s[14:15], exec
	s_waitcnt vmcnt(0)
	v_readfirstlane_b32 s16, v26
	v_readfirstlane_b32 s17, v27
	s_and_b64 s[16:17], s[12:13], s[16:17]
	s_mul_i32 s18, s17, 24
	s_mul_hi_u32 s19, s16, 24
	s_mul_i32 s20, s16, 24
	s_add_i32 s18, s19, s18
	v_mov_b32_e32 v23, s18
	v_add_co_u32_e32 v22, vcc, s20, v18
	v_addc_co_u32_e32 v23, vcc, v19, v23, vcc
	s_and_saveexec_b64 s[18:19], s[4:5]
	s_cbranch_execz .LBB5_265
; %bb.264:                              ;   in Loop: Header=BB5_202 Depth=2
	v_mov_b32_e32 v49, s15
	v_mov_b32_e32 v48, s14
	global_store_dwordx4 v[22:23], v[48:51], off offset:8
.LBB5_265:                              ;   in Loop: Header=BB5_202 Depth=2
	s_or_b64 exec, exec, s[18:19]
	s_lshl_b64 s[14:15], s[16:17], 12
	v_mov_b32_e32 v26, s15
	v_add_co_u32_e32 v20, vcc, s14, v20
	v_addc_co_u32_e32 v21, vcc, v21, v26, vcc
	v_cmp_gt_u64_e64 vcc, s[8:9], 56
	v_or_b32_e32 v27, v2, v25
	s_lshl_b32 s14, s10, 2
	v_cndmask_b32_e32 v2, v27, v2, vcc
	s_add_i32 s14, s14, 28
	v_or_b32_e32 v26, 0, v3
	s_and_b32 s14, s14, 0x1e0
	v_and_b32_e32 v2, 0xffffff1f, v2
	v_cndmask_b32_e32 v3, v26, v3, vcc
	v_or_b32_e32 v2, s14, v2
	v_readfirstlane_b32 s14, v20
	v_readfirstlane_b32 s15, v21
	s_nop 4
	global_store_dwordx4 v40, v[2:5], s[14:15]
	global_store_dwordx4 v40, v[6:9], s[14:15] offset:16
	global_store_dwordx4 v40, v[10:13], s[14:15] offset:32
	;; [unrolled: 1-line block ×3, first 2 shown]
	s_and_saveexec_b64 s[14:15], s[4:5]
	s_cbranch_execz .LBB5_273
; %bb.266:                              ;   in Loop: Header=BB5_202 Depth=2
	global_load_dwordx2 v[10:11], v38, s[28:29] offset:32 glc
	global_load_dwordx2 v[2:3], v38, s[28:29] offset:40
	v_mov_b32_e32 v8, s12
	v_mov_b32_e32 v9, s13
	s_waitcnt vmcnt(0)
	v_readfirstlane_b32 s16, v2
	v_readfirstlane_b32 s17, v3
	s_and_b64 s[16:17], s[16:17], s[12:13]
	s_mul_i32 s17, s17, 24
	s_mul_hi_u32 s18, s16, 24
	s_mul_i32 s16, s16, 24
	s_add_i32 s17, s18, s17
	v_mov_b32_e32 v2, s17
	v_add_co_u32_e32 v6, vcc, s16, v18
	v_addc_co_u32_e32 v7, vcc, v19, v2, vcc
	global_store_dwordx2 v[6:7], v[10:11], off
	s_waitcnt vmcnt(0)
	global_atomic_cmpswap_x2 v[4:5], v38, v[8:11], s[28:29] offset:32 glc
	s_waitcnt vmcnt(0)
	v_cmp_ne_u64_e32 vcc, v[4:5], v[10:11]
	s_and_saveexec_b64 s[16:17], vcc
	s_cbranch_execz .LBB5_269
; %bb.267:                              ;   in Loop: Header=BB5_202 Depth=2
	s_mov_b64 s[18:19], 0
.LBB5_268:                              ;   Parent Loop BB5_171 Depth=1
                                        ;     Parent Loop BB5_202 Depth=2
                                        ; =>    This Inner Loop Header: Depth=3
	s_sleep 1
	global_store_dwordx2 v[6:7], v[4:5], off
	v_mov_b32_e32 v2, s12
	v_mov_b32_e32 v3, s13
	s_waitcnt vmcnt(0)
	global_atomic_cmpswap_x2 v[2:3], v38, v[2:5], s[28:29] offset:32 glc
	s_waitcnt vmcnt(0)
	v_cmp_eq_u64_e32 vcc, v[2:3], v[4:5]
	v_mov_b32_e32 v5, v3
	s_or_b64 s[18:19], vcc, s[18:19]
	v_mov_b32_e32 v4, v2
	s_andn2_b64 exec, exec, s[18:19]
	s_cbranch_execnz .LBB5_268
.LBB5_269:                              ;   in Loop: Header=BB5_202 Depth=2
	s_or_b64 exec, exec, s[16:17]
	global_load_dwordx2 v[2:3], v38, s[28:29] offset:16
	s_mov_b64 s[18:19], exec
	v_mbcnt_lo_u32_b32 v4, s18, 0
	v_mbcnt_hi_u32_b32 v4, s19, v4
	v_cmp_eq_u32_e32 vcc, 0, v4
	s_and_saveexec_b64 s[16:17], vcc
	s_cbranch_execz .LBB5_271
; %bb.270:                              ;   in Loop: Header=BB5_202 Depth=2
	s_bcnt1_i32_b64 s18, s[18:19]
	v_mov_b32_e32 v37, s18
	s_waitcnt vmcnt(0)
	global_atomic_add_x2 v[2:3], v[37:38], off offset:8
.LBB5_271:                              ;   in Loop: Header=BB5_202 Depth=2
	s_or_b64 exec, exec, s[16:17]
	s_waitcnt vmcnt(0)
	global_load_dwordx2 v[4:5], v[2:3], off offset:16
	s_waitcnt vmcnt(0)
	v_cmp_eq_u64_e32 vcc, 0, v[4:5]
	s_cbranch_vccnz .LBB5_273
; %bb.272:                              ;   in Loop: Header=BB5_202 Depth=2
	global_load_dword v37, v[2:3], off offset:24
	s_waitcnt vmcnt(0)
	v_and_b32_e32 v2, 0xffffff, v37
	v_readfirstlane_b32 m0, v2
	global_store_dwordx2 v[4:5], v[37:38], off
	s_sendmsg sendmsg(MSG_INTERRUPT)
.LBB5_273:                              ;   in Loop: Header=BB5_202 Depth=2
	s_or_b64 exec, exec, s[14:15]
	v_add_co_u32_e32 v2, vcc, v20, v40
	v_addc_co_u32_e32 v3, vcc, 0, v21, vcc
	s_branch .LBB5_277
.LBB5_274:                              ;   in Loop: Header=BB5_277 Depth=3
	s_or_b64 exec, exec, s[14:15]
	v_readfirstlane_b32 s14, v4
	s_cmp_eq_u32 s14, 0
	s_cbranch_scc1 .LBB5_276
; %bb.275:                              ;   in Loop: Header=BB5_277 Depth=3
	s_sleep 1
	s_cbranch_execnz .LBB5_277
	s_branch .LBB5_279
.LBB5_276:                              ;   in Loop: Header=BB5_202 Depth=2
	s_branch .LBB5_279
.LBB5_277:                              ;   Parent Loop BB5_171 Depth=1
                                        ;     Parent Loop BB5_202 Depth=2
                                        ; =>    This Inner Loop Header: Depth=3
	v_mov_b32_e32 v4, 1
	s_and_saveexec_b64 s[14:15], s[4:5]
	s_cbranch_execz .LBB5_274
; %bb.278:                              ;   in Loop: Header=BB5_277 Depth=3
	global_load_dword v4, v[22:23], off offset:20 glc
	s_waitcnt vmcnt(0)
	buffer_wbinvl1_vol
	v_and_b32_e32 v4, 1, v4
	s_branch .LBB5_274
.LBB5_279:                              ;   in Loop: Header=BB5_202 Depth=2
	global_load_dwordx4 v[2:5], v[2:3], off
	s_and_saveexec_b64 s[14:15], s[4:5]
	s_cbranch_execz .LBB5_201
; %bb.280:                              ;   in Loop: Header=BB5_202 Depth=2
	global_load_dwordx2 v[6:7], v38, s[28:29] offset:40
	global_load_dwordx2 v[10:11], v38, s[28:29] offset:24 glc
	global_load_dwordx2 v[8:9], v38, s[28:29]
	s_waitcnt vmcnt(0)
	v_mov_b32_e32 v5, s13
	v_add_co_u32_e32 v12, vcc, 1, v6
	v_addc_co_u32_e32 v13, vcc, 0, v7, vcc
	v_add_co_u32_e32 v4, vcc, s12, v12
	v_addc_co_u32_e32 v5, vcc, v13, v5, vcc
	v_cmp_eq_u64_e32 vcc, 0, v[4:5]
	v_cndmask_b32_e32 v5, v5, v13, vcc
	v_cndmask_b32_e32 v4, v4, v12, vcc
	v_and_b32_e32 v7, v5, v7
	v_and_b32_e32 v6, v4, v6
	v_mul_lo_u32 v7, v7, 24
	v_mul_hi_u32 v12, v6, 24
	v_mul_lo_u32 v13, v6, 24
	v_mov_b32_e32 v6, v10
	v_add_u32_e32 v7, v12, v7
	v_add_co_u32_e32 v8, vcc, v8, v13
	v_addc_co_u32_e32 v9, vcc, v9, v7, vcc
	global_store_dwordx2 v[8:9], v[10:11], off
	v_mov_b32_e32 v7, v11
	s_waitcnt vmcnt(0)
	global_atomic_cmpswap_x2 v[6:7], v38, v[4:7], s[28:29] offset:24 glc
	s_waitcnt vmcnt(0)
	v_cmp_ne_u64_e32 vcc, v[6:7], v[10:11]
	s_and_b64 exec, exec, vcc
	s_cbranch_execz .LBB5_201
; %bb.281:                              ;   in Loop: Header=BB5_202 Depth=2
	s_mov_b64 s[4:5], 0
.LBB5_282:                              ;   Parent Loop BB5_171 Depth=1
                                        ;     Parent Loop BB5_202 Depth=2
                                        ; =>    This Inner Loop Header: Depth=3
	s_sleep 1
	global_store_dwordx2 v[8:9], v[6:7], off
	s_waitcnt vmcnt(0)
	global_atomic_cmpswap_x2 v[10:11], v38, v[4:7], s[28:29] offset:24 glc
	s_waitcnt vmcnt(0)
	v_cmp_eq_u64_e32 vcc, v[10:11], v[6:7]
	v_mov_b32_e32 v6, v10
	s_or_b64 s[4:5], vcc, s[4:5]
	v_mov_b32_e32 v7, v11
	s_andn2_b64 exec, exec, s[4:5]
	s_cbranch_execnz .LBB5_282
	s_branch .LBB5_201
.LBB5_283:                              ;   in Loop: Header=BB5_171 Depth=1
	s_branch .LBB5_312
.LBB5_284:                              ;   in Loop: Header=BB5_171 Depth=1
                                        ; implicit-def: $vgpr2_vgpr3
	s_cbranch_execz .LBB5_312
; %bb.285:                              ;   in Loop: Header=BB5_171 Depth=1
	v_readfirstlane_b32 s4, v55
	s_waitcnt vmcnt(0)
	v_mov_b32_e32 v2, 0
	v_mov_b32_e32 v3, 0
	v_cmp_eq_u32_e64 s[4:5], s4, v55
	s_and_saveexec_b64 s[6:7], s[4:5]
	s_cbranch_execz .LBB5_291
; %bb.286:                              ;   in Loop: Header=BB5_171 Depth=1
	global_load_dwordx2 v[4:5], v38, s[28:29] offset:24 glc
	s_waitcnt vmcnt(0)
	buffer_wbinvl1_vol
	global_load_dwordx2 v[2:3], v38, s[28:29] offset:40
	global_load_dwordx2 v[6:7], v38, s[28:29]
	s_waitcnt vmcnt(0)
	v_and_b32_e32 v2, v2, v4
	v_and_b32_e32 v3, v3, v5
	v_mul_lo_u32 v3, v3, 24
	v_mul_hi_u32 v8, v2, 24
	v_mul_lo_u32 v2, v2, 24
	v_add_u32_e32 v3, v8, v3
	v_add_co_u32_e32 v2, vcc, v6, v2
	v_addc_co_u32_e32 v3, vcc, v7, v3, vcc
	global_load_dwordx2 v[2:3], v[2:3], off glc
	s_waitcnt vmcnt(0)
	global_atomic_cmpswap_x2 v[2:3], v38, v[2:5], s[28:29] offset:24 glc
	s_waitcnt vmcnt(0)
	buffer_wbinvl1_vol
	v_cmp_ne_u64_e32 vcc, v[2:3], v[4:5]
	s_and_saveexec_b64 s[8:9], vcc
	s_cbranch_execz .LBB5_290
; %bb.287:                              ;   in Loop: Header=BB5_171 Depth=1
	s_mov_b64 s[10:11], 0
.LBB5_288:                              ;   Parent Loop BB5_171 Depth=1
                                        ; =>  This Inner Loop Header: Depth=2
	s_sleep 1
	global_load_dwordx2 v[6:7], v38, s[28:29] offset:40
	global_load_dwordx2 v[8:9], v38, s[28:29]
	v_mov_b32_e32 v5, v3
	v_mov_b32_e32 v4, v2
	s_waitcnt vmcnt(0)
	v_and_b32_e32 v2, v6, v4
	v_mad_u64_u32 v[2:3], s[12:13], v2, 24, v[8:9]
	v_and_b32_e32 v6, v7, v5
	v_mad_u64_u32 v[6:7], s[12:13], v6, 24, v[3:4]
	v_mov_b32_e32 v3, v6
	global_load_dwordx2 v[2:3], v[2:3], off glc
	s_waitcnt vmcnt(0)
	global_atomic_cmpswap_x2 v[2:3], v38, v[2:5], s[28:29] offset:24 glc
	s_waitcnt vmcnt(0)
	buffer_wbinvl1_vol
	v_cmp_eq_u64_e32 vcc, v[2:3], v[4:5]
	s_or_b64 s[10:11], vcc, s[10:11]
	s_andn2_b64 exec, exec, s[10:11]
	s_cbranch_execnz .LBB5_288
; %bb.289:                              ;   in Loop: Header=BB5_171 Depth=1
	s_or_b64 exec, exec, s[10:11]
.LBB5_290:                              ;   in Loop: Header=BB5_171 Depth=1
	s_or_b64 exec, exec, s[8:9]
.LBB5_291:                              ;   in Loop: Header=BB5_171 Depth=1
	s_or_b64 exec, exec, s[6:7]
	global_load_dwordx2 v[8:9], v38, s[28:29] offset:40
	global_load_dwordx4 v[4:7], v38, s[28:29]
	v_readfirstlane_b32 s6, v2
	v_readfirstlane_b32 s7, v3
	s_mov_b64 s[8:9], exec
	s_waitcnt vmcnt(0)
	v_readfirstlane_b32 s10, v8
	v_readfirstlane_b32 s11, v9
	s_and_b64 s[10:11], s[6:7], s[10:11]
	s_mul_i32 s12, s11, 24
	s_mul_hi_u32 s13, s10, 24
	s_mul_i32 s14, s10, 24
	s_add_i32 s12, s13, s12
	v_mov_b32_e32 v2, s12
	v_add_co_u32_e32 v8, vcc, s14, v4
	v_addc_co_u32_e32 v9, vcc, v5, v2, vcc
	s_and_saveexec_b64 s[12:13], s[4:5]
	s_cbranch_execz .LBB5_293
; %bb.292:                              ;   in Loop: Header=BB5_171 Depth=1
	v_mov_b32_e32 v49, s9
	v_mov_b32_e32 v48, s8
	global_store_dwordx4 v[8:9], v[48:51], off offset:8
.LBB5_293:                              ;   in Loop: Header=BB5_171 Depth=1
	s_or_b64 exec, exec, s[12:13]
	s_lshl_b64 s[8:9], s[10:11], 12
	v_mov_b32_e32 v2, s9
	v_add_co_u32_e32 v6, vcc, s8, v6
	v_addc_co_u32_e32 v7, vcc, v7, v2, vcc
	v_and_or_b32 v0, v0, s23, 32
	v_mov_b32_e32 v2, v38
	v_mov_b32_e32 v3, v38
	v_readfirstlane_b32 s8, v6
	v_readfirstlane_b32 s9, v7
	s_nop 4
	global_store_dwordx4 v40, v[0:3], s[8:9]
	s_nop 0
	v_mov_b32_e32 v0, s36
	v_mov_b32_e32 v1, s37
	;; [unrolled: 1-line block ×4, first 2 shown]
	global_store_dwordx4 v40, v[0:3], s[8:9] offset:16
	global_store_dwordx4 v40, v[0:3], s[8:9] offset:32
	;; [unrolled: 1-line block ×3, first 2 shown]
	s_and_saveexec_b64 s[8:9], s[4:5]
	s_cbranch_execz .LBB5_301
; %bb.294:                              ;   in Loop: Header=BB5_171 Depth=1
	global_load_dwordx2 v[12:13], v38, s[28:29] offset:32 glc
	global_load_dwordx2 v[0:1], v38, s[28:29] offset:40
	v_mov_b32_e32 v10, s6
	v_mov_b32_e32 v11, s7
	s_waitcnt vmcnt(0)
	v_readfirstlane_b32 s10, v0
	v_readfirstlane_b32 s11, v1
	s_and_b64 s[10:11], s[10:11], s[6:7]
	s_mul_i32 s11, s11, 24
	s_mul_hi_u32 s12, s10, 24
	s_mul_i32 s10, s10, 24
	s_add_i32 s11, s12, s11
	v_mov_b32_e32 v0, s11
	v_add_co_u32_e32 v4, vcc, s10, v4
	v_addc_co_u32_e32 v5, vcc, v5, v0, vcc
	global_store_dwordx2 v[4:5], v[12:13], off
	s_waitcnt vmcnt(0)
	global_atomic_cmpswap_x2 v[2:3], v38, v[10:13], s[28:29] offset:32 glc
	s_waitcnt vmcnt(0)
	v_cmp_ne_u64_e32 vcc, v[2:3], v[12:13]
	s_and_saveexec_b64 s[10:11], vcc
	s_cbranch_execz .LBB5_297
; %bb.295:                              ;   in Loop: Header=BB5_171 Depth=1
	s_mov_b64 s[12:13], 0
.LBB5_296:                              ;   Parent Loop BB5_171 Depth=1
                                        ; =>  This Inner Loop Header: Depth=2
	s_sleep 1
	global_store_dwordx2 v[4:5], v[2:3], off
	v_mov_b32_e32 v0, s6
	v_mov_b32_e32 v1, s7
	s_waitcnt vmcnt(0)
	global_atomic_cmpswap_x2 v[0:1], v38, v[0:3], s[28:29] offset:32 glc
	s_waitcnt vmcnt(0)
	v_cmp_eq_u64_e32 vcc, v[0:1], v[2:3]
	v_mov_b32_e32 v3, v1
	s_or_b64 s[12:13], vcc, s[12:13]
	v_mov_b32_e32 v2, v0
	s_andn2_b64 exec, exec, s[12:13]
	s_cbranch_execnz .LBB5_296
.LBB5_297:                              ;   in Loop: Header=BB5_171 Depth=1
	s_or_b64 exec, exec, s[10:11]
	global_load_dwordx2 v[0:1], v38, s[28:29] offset:16
	s_mov_b64 s[12:13], exec
	v_mbcnt_lo_u32_b32 v2, s12, 0
	v_mbcnt_hi_u32_b32 v2, s13, v2
	v_cmp_eq_u32_e32 vcc, 0, v2
	s_and_saveexec_b64 s[10:11], vcc
	s_cbranch_execz .LBB5_299
; %bb.298:                              ;   in Loop: Header=BB5_171 Depth=1
	s_bcnt1_i32_b64 s12, s[12:13]
	v_mov_b32_e32 v37, s12
	s_waitcnt vmcnt(0)
	global_atomic_add_x2 v[0:1], v[37:38], off offset:8
.LBB5_299:                              ;   in Loop: Header=BB5_171 Depth=1
	s_or_b64 exec, exec, s[10:11]
	s_waitcnt vmcnt(0)
	global_load_dwordx2 v[2:3], v[0:1], off offset:16
	s_waitcnt vmcnt(0)
	v_cmp_eq_u64_e32 vcc, 0, v[2:3]
	s_cbranch_vccnz .LBB5_301
; %bb.300:                              ;   in Loop: Header=BB5_171 Depth=1
	global_load_dword v37, v[0:1], off offset:24
	s_waitcnt vmcnt(0)
	v_and_b32_e32 v0, 0xffffff, v37
	v_readfirstlane_b32 m0, v0
	global_store_dwordx2 v[2:3], v[37:38], off
	s_sendmsg sendmsg(MSG_INTERRUPT)
.LBB5_301:                              ;   in Loop: Header=BB5_171 Depth=1
	s_or_b64 exec, exec, s[8:9]
	v_add_co_u32_e32 v0, vcc, v6, v40
	v_addc_co_u32_e32 v1, vcc, 0, v7, vcc
	s_branch .LBB5_305
.LBB5_302:                              ;   in Loop: Header=BB5_305 Depth=2
	s_or_b64 exec, exec, s[8:9]
	v_readfirstlane_b32 s8, v2
	s_cmp_eq_u32 s8, 0
	s_cbranch_scc1 .LBB5_304
; %bb.303:                              ;   in Loop: Header=BB5_305 Depth=2
	s_sleep 1
	s_cbranch_execnz .LBB5_305
	s_branch .LBB5_307
.LBB5_304:                              ;   in Loop: Header=BB5_171 Depth=1
	s_branch .LBB5_307
.LBB5_305:                              ;   Parent Loop BB5_171 Depth=1
                                        ; =>  This Inner Loop Header: Depth=2
	v_mov_b32_e32 v2, 1
	s_and_saveexec_b64 s[8:9], s[4:5]
	s_cbranch_execz .LBB5_302
; %bb.306:                              ;   in Loop: Header=BB5_305 Depth=2
	global_load_dword v2, v[8:9], off offset:20 glc
	s_waitcnt vmcnt(0)
	buffer_wbinvl1_vol
	v_and_b32_e32 v2, 1, v2
	s_branch .LBB5_302
.LBB5_307:                              ;   in Loop: Header=BB5_171 Depth=1
	global_load_dwordx2 v[2:3], v[0:1], off
	s_and_saveexec_b64 s[8:9], s[4:5]
	s_cbranch_execz .LBB5_311
; %bb.308:                              ;   in Loop: Header=BB5_171 Depth=1
	global_load_dwordx2 v[0:1], v38, s[28:29] offset:40
	global_load_dwordx2 v[8:9], v38, s[28:29] offset:24 glc
	global_load_dwordx2 v[10:11], v38, s[28:29]
	v_mov_b32_e32 v5, s7
	s_waitcnt vmcnt(0)
	v_add_co_u32_e32 v6, vcc, 1, v0
	v_addc_co_u32_e32 v7, vcc, 0, v1, vcc
	v_add_co_u32_e32 v4, vcc, s6, v6
	v_addc_co_u32_e32 v5, vcc, v7, v5, vcc
	v_cmp_eq_u64_e32 vcc, 0, v[4:5]
	v_cndmask_b32_e32 v5, v5, v7, vcc
	v_cndmask_b32_e32 v4, v4, v6, vcc
	v_and_b32_e32 v1, v5, v1
	v_and_b32_e32 v0, v4, v0
	v_mul_lo_u32 v1, v1, 24
	v_mul_hi_u32 v7, v0, 24
	v_mul_lo_u32 v0, v0, 24
	v_mov_b32_e32 v6, v8
	v_add_u32_e32 v1, v7, v1
	v_add_co_u32_e32 v0, vcc, v10, v0
	v_addc_co_u32_e32 v1, vcc, v11, v1, vcc
	global_store_dwordx2 v[0:1], v[8:9], off
	v_mov_b32_e32 v7, v9
	s_waitcnt vmcnt(0)
	global_atomic_cmpswap_x2 v[6:7], v38, v[4:7], s[28:29] offset:24 glc
	s_waitcnt vmcnt(0)
	v_cmp_ne_u64_e32 vcc, v[6:7], v[8:9]
	s_and_b64 exec, exec, vcc
	s_cbranch_execz .LBB5_311
; %bb.309:                              ;   in Loop: Header=BB5_171 Depth=1
	s_mov_b64 s[4:5], 0
.LBB5_310:                              ;   Parent Loop BB5_171 Depth=1
                                        ; =>  This Inner Loop Header: Depth=2
	s_sleep 1
	global_store_dwordx2 v[0:1], v[6:7], off
	s_waitcnt vmcnt(0)
	global_atomic_cmpswap_x2 v[8:9], v38, v[4:7], s[28:29] offset:24 glc
	s_waitcnt vmcnt(0)
	v_cmp_eq_u64_e32 vcc, v[8:9], v[6:7]
	v_mov_b32_e32 v6, v8
	s_or_b64 s[4:5], vcc, s[4:5]
	v_mov_b32_e32 v7, v9
	s_andn2_b64 exec, exec, s[4:5]
	s_cbranch_execnz .LBB5_310
.LBB5_311:                              ;   in Loop: Header=BB5_171 Depth=1
	s_or_b64 exec, exec, s[8:9]
.LBB5_312:                              ;   in Loop: Header=BB5_171 Depth=1
	v_readfirstlane_b32 s4, v55
	s_waitcnt vmcnt(0)
	v_mov_b32_e32 v0, 0
	v_mov_b32_e32 v1, 0
	v_cmp_eq_u32_e64 s[4:5], s4, v55
	s_and_saveexec_b64 s[6:7], s[4:5]
	s_cbranch_execz .LBB5_318
; %bb.313:                              ;   in Loop: Header=BB5_171 Depth=1
	global_load_dwordx2 v[6:7], v38, s[28:29] offset:24 glc
	s_waitcnt vmcnt(0)
	buffer_wbinvl1_vol
	global_load_dwordx2 v[0:1], v38, s[28:29] offset:40
	global_load_dwordx2 v[4:5], v38, s[28:29]
	s_waitcnt vmcnt(0)
	v_and_b32_e32 v0, v0, v6
	v_and_b32_e32 v1, v1, v7
	v_mul_lo_u32 v1, v1, 24
	v_mul_hi_u32 v8, v0, 24
	v_mul_lo_u32 v0, v0, 24
	v_add_u32_e32 v1, v8, v1
	v_add_co_u32_e32 v0, vcc, v4, v0
	v_addc_co_u32_e32 v1, vcc, v5, v1, vcc
	global_load_dwordx2 v[4:5], v[0:1], off glc
	s_waitcnt vmcnt(0)
	global_atomic_cmpswap_x2 v[0:1], v38, v[4:7], s[28:29] offset:24 glc
	s_waitcnt vmcnt(0)
	buffer_wbinvl1_vol
	v_cmp_ne_u64_e32 vcc, v[0:1], v[6:7]
	s_and_saveexec_b64 s[8:9], vcc
	s_cbranch_execz .LBB5_317
; %bb.314:                              ;   in Loop: Header=BB5_171 Depth=1
	s_mov_b64 s[10:11], 0
.LBB5_315:                              ;   Parent Loop BB5_171 Depth=1
                                        ; =>  This Inner Loop Header: Depth=2
	s_sleep 1
	global_load_dwordx2 v[4:5], v38, s[28:29] offset:40
	global_load_dwordx2 v[8:9], v38, s[28:29]
	v_mov_b32_e32 v7, v1
	v_mov_b32_e32 v6, v0
	s_waitcnt vmcnt(0)
	v_and_b32_e32 v0, v4, v6
	v_mad_u64_u32 v[0:1], s[12:13], v0, 24, v[8:9]
	v_and_b32_e32 v4, v5, v7
	v_mad_u64_u32 v[4:5], s[12:13], v4, 24, v[1:2]
	v_mov_b32_e32 v1, v4
	global_load_dwordx2 v[4:5], v[0:1], off glc
	s_waitcnt vmcnt(0)
	global_atomic_cmpswap_x2 v[0:1], v38, v[4:7], s[28:29] offset:24 glc
	s_waitcnt vmcnt(0)
	buffer_wbinvl1_vol
	v_cmp_eq_u64_e32 vcc, v[0:1], v[6:7]
	s_or_b64 s[10:11], vcc, s[10:11]
	s_andn2_b64 exec, exec, s[10:11]
	s_cbranch_execnz .LBB5_315
; %bb.316:                              ;   in Loop: Header=BB5_171 Depth=1
	s_or_b64 exec, exec, s[10:11]
.LBB5_317:                              ;   in Loop: Header=BB5_171 Depth=1
	s_or_b64 exec, exec, s[8:9]
.LBB5_318:                              ;   in Loop: Header=BB5_171 Depth=1
	s_or_b64 exec, exec, s[6:7]
	global_load_dwordx2 v[4:5], v38, s[28:29] offset:40
	global_load_dwordx4 v[6:9], v38, s[28:29]
	v_readfirstlane_b32 s6, v0
	v_readfirstlane_b32 s7, v1
	s_mov_b64 s[8:9], exec
	s_waitcnt vmcnt(0)
	v_readfirstlane_b32 s10, v4
	v_readfirstlane_b32 s11, v5
	s_and_b64 s[10:11], s[6:7], s[10:11]
	s_mul_i32 s12, s11, 24
	s_mul_hi_u32 s13, s10, 24
	s_mul_i32 s14, s10, 24
	s_add_i32 s12, s13, s12
	v_mov_b32_e32 v0, s12
	v_add_co_u32_e32 v10, vcc, s14, v6
	v_addc_co_u32_e32 v11, vcc, v7, v0, vcc
	s_and_saveexec_b64 s[12:13], s[4:5]
	s_cbranch_execz .LBB5_320
; %bb.319:                              ;   in Loop: Header=BB5_171 Depth=1
	v_mov_b32_e32 v49, s9
	v_mov_b32_e32 v48, s8
	global_store_dwordx4 v[10:11], v[48:51], off offset:8
.LBB5_320:                              ;   in Loop: Header=BB5_171 Depth=1
	s_or_b64 exec, exec, s[12:13]
	s_lshl_b64 s[8:9], s[10:11], 12
	v_mov_b32_e32 v0, s9
	v_add_co_u32_e32 v1, vcc, s8, v8
	v_addc_co_u32_e32 v0, vcc, v9, v0, vcc
	v_and_or_b32 v2, v2, s40, 34
	s_waitcnt lgkmcnt(0)
	v_ashrrev_i32_e32 v5, 31, v24
	v_mov_b32_e32 v4, v24
	v_readfirstlane_b32 s8, v1
	v_readfirstlane_b32 s9, v0
	s_nop 4
	global_store_dwordx4 v40, v[2:5], s[8:9]
	v_mov_b32_e32 v0, s36
	v_mov_b32_e32 v1, s37
	v_mov_b32_e32 v2, s38
	v_mov_b32_e32 v3, s39
	global_store_dwordx4 v40, v[0:3], s[8:9] offset:16
	global_store_dwordx4 v40, v[0:3], s[8:9] offset:32
	;; [unrolled: 1-line block ×3, first 2 shown]
	s_and_saveexec_b64 s[8:9], s[4:5]
	s_cbranch_execz .LBB5_328
; %bb.321:                              ;   in Loop: Header=BB5_171 Depth=1
	global_load_dwordx2 v[14:15], v38, s[28:29] offset:32 glc
	global_load_dwordx2 v[0:1], v38, s[28:29] offset:40
	v_mov_b32_e32 v12, s6
	v_mov_b32_e32 v13, s7
	s_waitcnt vmcnt(0)
	v_readfirstlane_b32 s10, v0
	v_readfirstlane_b32 s11, v1
	s_and_b64 s[10:11], s[10:11], s[6:7]
	s_mul_i32 s11, s11, 24
	s_mul_hi_u32 s12, s10, 24
	s_mul_i32 s10, s10, 24
	s_add_i32 s11, s12, s11
	v_mov_b32_e32 v0, s11
	v_add_co_u32_e32 v4, vcc, s10, v6
	v_addc_co_u32_e32 v5, vcc, v7, v0, vcc
	global_store_dwordx2 v[4:5], v[14:15], off
	s_waitcnt vmcnt(0)
	global_atomic_cmpswap_x2 v[2:3], v38, v[12:15], s[28:29] offset:32 glc
	s_waitcnt vmcnt(0)
	v_cmp_ne_u64_e32 vcc, v[2:3], v[14:15]
	s_and_saveexec_b64 s[10:11], vcc
	s_cbranch_execz .LBB5_324
; %bb.322:                              ;   in Loop: Header=BB5_171 Depth=1
	s_mov_b64 s[12:13], 0
.LBB5_323:                              ;   Parent Loop BB5_171 Depth=1
                                        ; =>  This Inner Loop Header: Depth=2
	s_sleep 1
	global_store_dwordx2 v[4:5], v[2:3], off
	v_mov_b32_e32 v0, s6
	v_mov_b32_e32 v1, s7
	s_waitcnt vmcnt(0)
	global_atomic_cmpswap_x2 v[0:1], v38, v[0:3], s[28:29] offset:32 glc
	s_waitcnt vmcnt(0)
	v_cmp_eq_u64_e32 vcc, v[0:1], v[2:3]
	v_mov_b32_e32 v3, v1
	s_or_b64 s[12:13], vcc, s[12:13]
	v_mov_b32_e32 v2, v0
	s_andn2_b64 exec, exec, s[12:13]
	s_cbranch_execnz .LBB5_323
.LBB5_324:                              ;   in Loop: Header=BB5_171 Depth=1
	s_or_b64 exec, exec, s[10:11]
	global_load_dwordx2 v[0:1], v38, s[28:29] offset:16
	s_mov_b64 s[12:13], exec
	v_mbcnt_lo_u32_b32 v2, s12, 0
	v_mbcnt_hi_u32_b32 v2, s13, v2
	v_cmp_eq_u32_e32 vcc, 0, v2
	s_and_saveexec_b64 s[10:11], vcc
	s_cbranch_execz .LBB5_326
; %bb.325:                              ;   in Loop: Header=BB5_171 Depth=1
	s_bcnt1_i32_b64 s12, s[12:13]
	v_mov_b32_e32 v37, s12
	s_waitcnt vmcnt(0)
	global_atomic_add_x2 v[0:1], v[37:38], off offset:8
.LBB5_326:                              ;   in Loop: Header=BB5_171 Depth=1
	s_or_b64 exec, exec, s[10:11]
	s_waitcnt vmcnt(0)
	global_load_dwordx2 v[2:3], v[0:1], off offset:16
	s_waitcnt vmcnt(0)
	v_cmp_eq_u64_e32 vcc, 0, v[2:3]
	s_cbranch_vccnz .LBB5_328
; %bb.327:                              ;   in Loop: Header=BB5_171 Depth=1
	global_load_dword v37, v[0:1], off offset:24
	s_waitcnt vmcnt(0)
	v_and_b32_e32 v0, 0xffffff, v37
	v_readfirstlane_b32 m0, v0
	global_store_dwordx2 v[2:3], v[37:38], off
	s_sendmsg sendmsg(MSG_INTERRUPT)
.LBB5_328:                              ;   in Loop: Header=BB5_171 Depth=1
	s_or_b64 exec, exec, s[8:9]
	s_branch .LBB5_332
.LBB5_329:                              ;   in Loop: Header=BB5_332 Depth=2
	s_or_b64 exec, exec, s[8:9]
	v_readfirstlane_b32 s8, v0
	s_cmp_eq_u32 s8, 0
	s_cbranch_scc1 .LBB5_331
; %bb.330:                              ;   in Loop: Header=BB5_332 Depth=2
	s_sleep 1
	s_cbranch_execnz .LBB5_332
	s_branch .LBB5_334
.LBB5_331:                              ;   in Loop: Header=BB5_171 Depth=1
	s_branch .LBB5_334
.LBB5_332:                              ;   Parent Loop BB5_171 Depth=1
                                        ; =>  This Inner Loop Header: Depth=2
	v_mov_b32_e32 v0, 1
	s_and_saveexec_b64 s[8:9], s[4:5]
	s_cbranch_execz .LBB5_329
; %bb.333:                              ;   in Loop: Header=BB5_332 Depth=2
	global_load_dword v0, v[10:11], off offset:20 glc
	s_waitcnt vmcnt(0)
	buffer_wbinvl1_vol
	v_and_b32_e32 v0, 1, v0
	s_branch .LBB5_329
.LBB5_334:                              ;   in Loop: Header=BB5_171 Depth=1
	s_and_saveexec_b64 s[8:9], s[4:5]
	s_cbranch_execz .LBB5_170
; %bb.335:                              ;   in Loop: Header=BB5_171 Depth=1
	global_load_dwordx2 v[2:3], v38, s[28:29] offset:40
	global_load_dwordx2 v[6:7], v38, s[28:29] offset:24 glc
	global_load_dwordx2 v[4:5], v38, s[28:29]
	v_mov_b32_e32 v1, s7
	s_waitcnt vmcnt(2)
	v_add_co_u32_e32 v8, vcc, 1, v2
	v_addc_co_u32_e32 v9, vcc, 0, v3, vcc
	v_add_co_u32_e32 v0, vcc, s6, v8
	v_addc_co_u32_e32 v1, vcc, v9, v1, vcc
	v_cmp_eq_u64_e32 vcc, 0, v[0:1]
	v_cndmask_b32_e32 v1, v1, v9, vcc
	v_cndmask_b32_e32 v0, v0, v8, vcc
	v_and_b32_e32 v3, v1, v3
	v_and_b32_e32 v2, v0, v2
	v_mul_lo_u32 v3, v3, 24
	v_mul_hi_u32 v8, v2, 24
	v_mul_lo_u32 v9, v2, 24
	s_waitcnt vmcnt(1)
	v_mov_b32_e32 v2, v6
	v_add_u32_e32 v3, v8, v3
	s_waitcnt vmcnt(0)
	v_add_co_u32_e32 v4, vcc, v4, v9
	v_addc_co_u32_e32 v5, vcc, v5, v3, vcc
	global_store_dwordx2 v[4:5], v[6:7], off
	v_mov_b32_e32 v3, v7
	s_waitcnt vmcnt(0)
	global_atomic_cmpswap_x2 v[2:3], v38, v[0:3], s[28:29] offset:24 glc
	s_waitcnt vmcnt(0)
	v_cmp_ne_u64_e32 vcc, v[2:3], v[6:7]
	s_and_b64 exec, exec, vcc
	s_cbranch_execz .LBB5_170
; %bb.336:                              ;   in Loop: Header=BB5_171 Depth=1
	s_mov_b64 s[4:5], 0
.LBB5_337:                              ;   Parent Loop BB5_171 Depth=1
                                        ; =>  This Inner Loop Header: Depth=2
	s_sleep 1
	global_store_dwordx2 v[4:5], v[2:3], off
	s_waitcnt vmcnt(0)
	global_atomic_cmpswap_x2 v[6:7], v38, v[0:3], s[28:29] offset:24 glc
	s_waitcnt vmcnt(0)
	v_cmp_eq_u64_e32 vcc, v[6:7], v[2:3]
	v_mov_b32_e32 v2, v6
	s_or_b64 s[4:5], vcc, s[4:5]
	v_mov_b32_e32 v3, v7
	s_andn2_b64 exec, exec, s[4:5]
	s_cbranch_execnz .LBB5_337
	s_branch .LBB5_170
.LBB5_338:
	v_readlane_b32 s30, v41, 0
	v_readlane_b32 s31, v41, 1
	;; [unrolled: 1-line block ×3, first 2 shown]
	s_or_saveexec_b64 s[6:7], -1
	buffer_load_dword v41, off, s[0:3], s33 ; 4-byte Folded Reload
	s_mov_b64 exec, s[6:7]
	s_addk_i32 s32, 0xfc00
	s_mov_b32 s33, s4
	s_waitcnt vmcnt(0) lgkmcnt(0)
	s_setpc_b64 s[30:31]
.Lfunc_end4:
	.size	_ZN8migraphx4testlsIKNS_13basic_printerIZNS_4coutEvEUlT_E_EEEERS3_S7_RKNS0_10expressionINS0_14lhs_expressionIRNS_5arrayIiLj6EEENS0_3nopEEESC_NS0_5equalEEE, .Lfunc_end4-_ZN8migraphx4testlsIKNS_13basic_printerIZNS_4coutEvEUlT_E_EEEERS3_S7_RKNS0_10expressionINS0_14lhs_expressionIRNS_5arrayIiLj6EEENS0_3nopEEESC_NS0_5equalEEE
                                        ; -- End function
	.section	.AMDGPU.csdata,"",@progbits
; Function info:
; codeLenInByte = 11708
; NumSgprs: 45
; NumVgprs: 56
; ScratchSize: 16
; MemoryBound: 0
	.text
	.p2align	2                               ; -- Begin function _ZNK8migraphx13basic_printerIZNS_4coutEvEUlT_E_ElsEc
	.type	_ZNK8migraphx13basic_printerIZNS_4coutEvEUlT_E_ElsEc,@function
_ZNK8migraphx13basic_printerIZNS_4coutEvEUlT_E_ElsEc: ; @_ZNK8migraphx13basic_printerIZNS_4coutEvEUlT_E_ElsEc
; %bb.0:
	s_waitcnt vmcnt(0) expcnt(0) lgkmcnt(0)
	s_load_dwordx2 s[6:7], s[8:9], 0x50
	v_mbcnt_lo_u32_b32 v1, -1, 0
	v_mbcnt_hi_u32_b32 v33, -1, v1
	v_readfirstlane_b32 s4, v33
	v_mov_b32_e32 v6, 0
	v_mov_b32_e32 v7, 0
	v_cmp_eq_u32_e64 s[4:5], s4, v33
	s_and_saveexec_b64 s[8:9], s[4:5]
	s_cbranch_execz .LBB3_6
; %bb.1:
	v_mov_b32_e32 v1, 0
	s_waitcnt lgkmcnt(0)
	global_load_dwordx2 v[4:5], v1, s[6:7] offset:24 glc
	s_waitcnt vmcnt(0)
	buffer_wbinvl1_vol
	global_load_dwordx2 v[2:3], v1, s[6:7] offset:40
	global_load_dwordx2 v[6:7], v1, s[6:7]
	s_waitcnt vmcnt(1)
	v_and_b32_e32 v2, v2, v4
	v_and_b32_e32 v3, v3, v5
	v_mul_lo_u32 v3, v3, 24
	v_mul_hi_u32 v8, v2, 24
	v_mul_lo_u32 v2, v2, 24
	v_add_u32_e32 v3, v8, v3
	s_waitcnt vmcnt(0)
	v_add_co_u32_e32 v2, vcc, v6, v2
	v_addc_co_u32_e32 v3, vcc, v7, v3, vcc
	global_load_dwordx2 v[2:3], v[2:3], off glc
	s_waitcnt vmcnt(0)
	global_atomic_cmpswap_x2 v[6:7], v1, v[2:5], s[6:7] offset:24 glc
	s_waitcnt vmcnt(0)
	buffer_wbinvl1_vol
	v_cmp_ne_u64_e32 vcc, v[6:7], v[4:5]
	s_and_saveexec_b64 s[10:11], vcc
	s_cbranch_execz .LBB3_5
; %bb.2:
	s_mov_b64 s[12:13], 0
.LBB3_3:                                ; =>This Inner Loop Header: Depth=1
	s_sleep 1
	global_load_dwordx2 v[2:3], v1, s[6:7] offset:40
	global_load_dwordx2 v[8:9], v1, s[6:7]
	v_mov_b32_e32 v4, v6
	v_mov_b32_e32 v5, v7
	s_waitcnt vmcnt(1)
	v_and_b32_e32 v2, v2, v4
	s_waitcnt vmcnt(0)
	v_mad_u64_u32 v[6:7], s[14:15], v2, 24, v[8:9]
	v_and_b32_e32 v3, v3, v5
	v_mov_b32_e32 v2, v7
	v_mad_u64_u32 v[2:3], s[14:15], v3, 24, v[2:3]
	v_mov_b32_e32 v7, v2
	global_load_dwordx2 v[2:3], v[6:7], off glc
	s_waitcnt vmcnt(0)
	global_atomic_cmpswap_x2 v[6:7], v1, v[2:5], s[6:7] offset:24 glc
	s_waitcnt vmcnt(0)
	buffer_wbinvl1_vol
	v_cmp_eq_u64_e32 vcc, v[6:7], v[4:5]
	s_or_b64 s[12:13], vcc, s[12:13]
	s_andn2_b64 exec, exec, s[12:13]
	s_cbranch_execnz .LBB3_3
; %bb.4:
	s_or_b64 exec, exec, s[12:13]
.LBB3_5:
	s_or_b64 exec, exec, s[10:11]
.LBB3_6:
	s_or_b64 exec, exec, s[8:9]
	v_mov_b32_e32 v5, 0
	s_waitcnt lgkmcnt(0)
	global_load_dwordx2 v[8:9], v5, s[6:7] offset:40
	global_load_dwordx4 v[1:4], v5, s[6:7]
	v_readfirstlane_b32 s8, v6
	v_readfirstlane_b32 s9, v7
	s_mov_b64 s[10:11], exec
	s_waitcnt vmcnt(1)
	v_readfirstlane_b32 s12, v8
	v_readfirstlane_b32 s13, v9
	s_and_b64 s[12:13], s[8:9], s[12:13]
	s_mul_i32 s14, s13, 24
	s_mul_hi_u32 s15, s12, 24
	s_mul_i32 s16, s12, 24
	s_add_i32 s14, s15, s14
	v_mov_b32_e32 v6, s14
	s_waitcnt vmcnt(0)
	v_add_co_u32_e32 v8, vcc, s16, v1
	v_addc_co_u32_e32 v9, vcc, v2, v6, vcc
	s_and_saveexec_b64 s[14:15], s[4:5]
	s_cbranch_execz .LBB3_8
; %bb.7:
	v_mov_b32_e32 v10, s10
	v_mov_b32_e32 v11, s11
	;; [unrolled: 1-line block ×4, first 2 shown]
	global_store_dwordx4 v[8:9], v[10:13], off offset:8
.LBB3_8:
	s_or_b64 exec, exec, s[14:15]
	s_lshl_b64 s[10:11], s[12:13], 12
	v_mov_b32_e32 v6, s11
	v_add_co_u32_e32 v3, vcc, s10, v3
	v_addc_co_u32_e32 v12, vcc, v4, v6, vcc
	s_mov_b32 s12, 0
	v_lshlrev_b32_e32 v32, 6, v33
	v_mov_b32_e32 v4, 33
	v_mov_b32_e32 v6, v5
	;; [unrolled: 1-line block ×3, first 2 shown]
	v_readfirstlane_b32 s10, v3
	v_readfirstlane_b32 s11, v12
	v_add_co_u32_e32 v10, vcc, v3, v32
	s_mov_b32 s13, s12
	s_mov_b32 s14, s12
	s_mov_b32 s15, s12
	s_nop 0
	global_store_dwordx4 v32, v[4:7], s[10:11]
	v_mov_b32_e32 v3, s12
	v_addc_co_u32_e32 v11, vcc, 0, v12, vcc
	v_mov_b32_e32 v4, s13
	v_mov_b32_e32 v5, s14
	;; [unrolled: 1-line block ×3, first 2 shown]
	global_store_dwordx4 v32, v[3:6], s[10:11] offset:16
	global_store_dwordx4 v32, v[3:6], s[10:11] offset:32
	;; [unrolled: 1-line block ×3, first 2 shown]
	s_and_saveexec_b64 s[10:11], s[4:5]
	s_cbranch_execz .LBB3_16
; %bb.9:
	v_mov_b32_e32 v7, 0
	global_load_dwordx2 v[14:15], v7, s[6:7] offset:32 glc
	global_load_dwordx2 v[3:4], v7, s[6:7] offset:40
	v_mov_b32_e32 v12, s8
	v_mov_b32_e32 v13, s9
	s_waitcnt vmcnt(0)
	v_and_b32_e32 v3, s8, v3
	v_and_b32_e32 v4, s9, v4
	v_mul_lo_u32 v4, v4, 24
	v_mul_hi_u32 v5, v3, 24
	v_mul_lo_u32 v3, v3, 24
	v_add_u32_e32 v4, v5, v4
	v_add_co_u32_e32 v5, vcc, v1, v3
	v_addc_co_u32_e32 v6, vcc, v2, v4, vcc
	global_store_dwordx2 v[5:6], v[14:15], off
	s_waitcnt vmcnt(0)
	global_atomic_cmpswap_x2 v[3:4], v7, v[12:15], s[6:7] offset:32 glc
	s_waitcnt vmcnt(0)
	v_cmp_ne_u64_e32 vcc, v[3:4], v[14:15]
	s_and_saveexec_b64 s[12:13], vcc
	s_cbranch_execz .LBB3_12
; %bb.10:
	s_mov_b64 s[14:15], 0
.LBB3_11:                               ; =>This Inner Loop Header: Depth=1
	s_sleep 1
	global_store_dwordx2 v[5:6], v[3:4], off
	v_mov_b32_e32 v1, s8
	v_mov_b32_e32 v2, s9
	s_waitcnt vmcnt(0)
	global_atomic_cmpswap_x2 v[1:2], v7, v[1:4], s[6:7] offset:32 glc
	s_waitcnt vmcnt(0)
	v_cmp_eq_u64_e32 vcc, v[1:2], v[3:4]
	v_mov_b32_e32 v4, v2
	s_or_b64 s[14:15], vcc, s[14:15]
	v_mov_b32_e32 v3, v1
	s_andn2_b64 exec, exec, s[14:15]
	s_cbranch_execnz .LBB3_11
.LBB3_12:
	s_or_b64 exec, exec, s[12:13]
	v_mov_b32_e32 v4, 0
	global_load_dwordx2 v[1:2], v4, s[6:7] offset:16
	s_mov_b64 s[12:13], exec
	v_mbcnt_lo_u32_b32 v3, s12, 0
	v_mbcnt_hi_u32_b32 v3, s13, v3
	v_cmp_eq_u32_e32 vcc, 0, v3
	s_and_saveexec_b64 s[14:15], vcc
	s_cbranch_execz .LBB3_14
; %bb.13:
	s_bcnt1_i32_b64 s12, s[12:13]
	v_mov_b32_e32 v3, s12
	s_waitcnt vmcnt(0)
	global_atomic_add_x2 v[1:2], v[3:4], off offset:8
.LBB3_14:
	s_or_b64 exec, exec, s[14:15]
	s_waitcnt vmcnt(0)
	global_load_dwordx2 v[3:4], v[1:2], off offset:16
	s_waitcnt vmcnt(0)
	v_cmp_eq_u64_e32 vcc, 0, v[3:4]
	s_cbranch_vccnz .LBB3_16
; %bb.15:
	global_load_dword v1, v[1:2], off offset:24
	v_mov_b32_e32 v2, 0
	s_waitcnt vmcnt(0)
	global_store_dwordx2 v[3:4], v[1:2], off
	v_and_b32_e32 v1, 0xffffff, v1
	v_readfirstlane_b32 m0, v1
	s_sendmsg sendmsg(MSG_INTERRUPT)
.LBB3_16:
	s_or_b64 exec, exec, s[10:11]
	s_branch .LBB3_20
.LBB3_17:                               ;   in Loop: Header=BB3_20 Depth=1
	s_or_b64 exec, exec, s[10:11]
	v_readfirstlane_b32 s10, v1
	s_cmp_eq_u32 s10, 0
	s_cbranch_scc1 .LBB3_19
; %bb.18:                               ;   in Loop: Header=BB3_20 Depth=1
	s_sleep 1
	s_cbranch_execnz .LBB3_20
	s_branch .LBB3_22
.LBB3_19:
	s_branch .LBB3_22
.LBB3_20:                               ; =>This Inner Loop Header: Depth=1
	v_mov_b32_e32 v1, 1
	s_and_saveexec_b64 s[10:11], s[4:5]
	s_cbranch_execz .LBB3_17
; %bb.21:                               ;   in Loop: Header=BB3_20 Depth=1
	global_load_dword v1, v[8:9], off offset:20 glc
	s_waitcnt vmcnt(0)
	buffer_wbinvl1_vol
	v_and_b32_e32 v1, 1, v1
	s_branch .LBB3_17
.LBB3_22:
	global_load_dwordx2 v[1:2], v[10:11], off
	s_and_saveexec_b64 s[10:11], s[4:5]
	s_cbranch_execz .LBB3_25
; %bb.23:
	v_mov_b32_e32 v9, 0
	global_load_dwordx2 v[5:6], v9, s[6:7] offset:40
	global_load_dwordx2 v[10:11], v9, s[6:7] offset:24 glc
	global_load_dwordx2 v[7:8], v9, s[6:7]
	v_mov_b32_e32 v4, s9
	s_mov_b64 s[4:5], 0
	s_waitcnt vmcnt(2)
	v_add_co_u32_e32 v12, vcc, 1, v5
	v_addc_co_u32_e32 v13, vcc, 0, v6, vcc
	v_add_co_u32_e32 v3, vcc, s8, v12
	v_addc_co_u32_e32 v4, vcc, v13, v4, vcc
	v_cmp_eq_u64_e32 vcc, 0, v[3:4]
	v_cndmask_b32_e32 v4, v4, v13, vcc
	v_cndmask_b32_e32 v3, v3, v12, vcc
	v_and_b32_e32 v6, v4, v6
	v_and_b32_e32 v5, v3, v5
	v_mul_lo_u32 v6, v6, 24
	v_mul_hi_u32 v12, v5, 24
	v_mul_lo_u32 v13, v5, 24
	s_waitcnt vmcnt(1)
	v_mov_b32_e32 v5, v10
	v_add_u32_e32 v6, v12, v6
	s_waitcnt vmcnt(0)
	v_add_co_u32_e32 v7, vcc, v7, v13
	v_addc_co_u32_e32 v8, vcc, v8, v6, vcc
	global_store_dwordx2 v[7:8], v[10:11], off
	v_mov_b32_e32 v6, v11
	s_waitcnt vmcnt(0)
	global_atomic_cmpswap_x2 v[5:6], v9, v[3:6], s[6:7] offset:24 glc
	s_waitcnt vmcnt(0)
	v_cmp_ne_u64_e32 vcc, v[5:6], v[10:11]
	s_and_b64 exec, exec, vcc
	s_cbranch_execz .LBB3_25
.LBB3_24:                               ; =>This Inner Loop Header: Depth=1
	s_sleep 1
	global_store_dwordx2 v[7:8], v[5:6], off
	s_waitcnt vmcnt(0)
	global_atomic_cmpswap_x2 v[10:11], v9, v[3:6], s[6:7] offset:24 glc
	s_waitcnt vmcnt(0)
	v_cmp_eq_u64_e32 vcc, v[10:11], v[5:6]
	v_mov_b32_e32 v5, v10
	s_or_b64 s[4:5], vcc, s[4:5]
	v_mov_b32_e32 v6, v11
	s_andn2_b64 exec, exec, s[4:5]
	s_cbranch_execnz .LBB3_24
.LBB3_25:
	s_or_b64 exec, exec, s[10:11]
	s_getpc_b64 s[8:9]
	s_add_u32 s8, s8, .str.6@rel32@lo+4
	s_addc_u32 s9, s9, .str.6@rel32@hi+12
	s_cmp_lg_u64 s[8:9], 0
	s_cbranch_scc0 .LBB3_110
; %bb.26:
	s_waitcnt vmcnt(0)
	v_and_b32_e32 v34, 2, v1
	v_mov_b32_e32 v29, 0
	v_and_b32_e32 v3, -3, v1
	v_mov_b32_e32 v4, v2
	s_mov_b64 s[10:11], 3
	v_mov_b32_e32 v7, 2
	v_mov_b32_e32 v8, 1
	s_branch .LBB3_28
.LBB3_27:                               ;   in Loop: Header=BB3_28 Depth=1
	s_or_b64 exec, exec, s[16:17]
	s_sub_u32 s10, s10, s12
	s_subb_u32 s11, s11, s13
	s_add_u32 s8, s8, s12
	s_addc_u32 s9, s9, s13
	s_cmp_lg_u64 s[10:11], 0
	s_cbranch_scc0 .LBB3_109
.LBB3_28:                               ; =>This Loop Header: Depth=1
                                        ;     Child Loop BB3_31 Depth 2
                                        ;     Child Loop BB3_38 Depth 2
	;; [unrolled: 1-line block ×11, first 2 shown]
	v_cmp_lt_u64_e64 s[4:5], s[10:11], 56
	v_cmp_gt_u64_e64 s[14:15], s[10:11], 7
	s_and_b64 s[4:5], s[4:5], exec
	s_cselect_b32 s13, s11, 0
	s_cselect_b32 s12, s10, 56
	s_and_b64 vcc, exec, s[14:15]
	s_cbranch_vccnz .LBB3_33
; %bb.29:                               ;   in Loop: Header=BB3_28 Depth=1
	v_mov_b32_e32 v11, 0
	s_cmp_eq_u64 s[10:11], 0
	v_mov_b32_e32 v12, 0
	s_mov_b64 s[4:5], 0
	s_cbranch_scc1 .LBB3_32
; %bb.30:                               ;   in Loop: Header=BB3_28 Depth=1
	v_mov_b32_e32 v11, 0
	s_lshl_b64 s[14:15], s[12:13], 3
	s_mov_b64 s[16:17], 0
	v_mov_b32_e32 v12, 0
	s_mov_b64 s[18:19], s[8:9]
.LBB3_31:                               ;   Parent Loop BB3_28 Depth=1
                                        ; =>  This Inner Loop Header: Depth=2
	global_load_ubyte v5, v29, s[18:19]
	s_waitcnt vmcnt(0)
	v_and_b32_e32 v28, 0xffff, v5
	v_lshlrev_b64 v[5:6], s16, v[28:29]
	s_add_u32 s16, s16, 8
	s_addc_u32 s17, s17, 0
	s_add_u32 s18, s18, 1
	s_addc_u32 s19, s19, 0
	v_or_b32_e32 v11, v5, v11
	s_cmp_lg_u32 s14, s16
	v_or_b32_e32 v12, v6, v12
	s_cbranch_scc1 .LBB3_31
.LBB3_32:                               ;   in Loop: Header=BB3_28 Depth=1
	s_mov_b32 s18, 0
	s_andn2_b64 vcc, exec, s[4:5]
	s_mov_b64 s[4:5], s[8:9]
	s_cbranch_vccz .LBB3_34
	s_branch .LBB3_35
.LBB3_33:                               ;   in Loop: Header=BB3_28 Depth=1
                                        ; implicit-def: $vgpr11_vgpr12
                                        ; implicit-def: $sgpr18
	s_mov_b64 s[4:5], s[8:9]
.LBB3_34:                               ;   in Loop: Header=BB3_28 Depth=1
	global_load_dwordx2 v[11:12], v29, s[8:9]
	s_add_i32 s18, s12, -8
	s_add_u32 s4, s8, 8
	s_addc_u32 s5, s9, 0
.LBB3_35:                               ;   in Loop: Header=BB3_28 Depth=1
	s_cmp_gt_u32 s18, 7
	s_cbranch_scc1 .LBB3_39
; %bb.36:                               ;   in Loop: Header=BB3_28 Depth=1
	s_cmp_eq_u32 s18, 0
	s_cbranch_scc1 .LBB3_40
; %bb.37:                               ;   in Loop: Header=BB3_28 Depth=1
	v_mov_b32_e32 v13, 0
	s_mov_b64 s[14:15], 0
	v_mov_b32_e32 v14, 0
	s_mov_b64 s[16:17], 0
.LBB3_38:                               ;   Parent Loop BB3_28 Depth=1
                                        ; =>  This Inner Loop Header: Depth=2
	s_add_u32 s20, s4, s16
	s_addc_u32 s21, s5, s17
	global_load_ubyte v5, v29, s[20:21]
	s_add_u32 s16, s16, 1
	s_addc_u32 s17, s17, 0
	s_waitcnt vmcnt(0)
	v_and_b32_e32 v28, 0xffff, v5
	v_lshlrev_b64 v[5:6], s14, v[28:29]
	s_add_u32 s14, s14, 8
	s_addc_u32 s15, s15, 0
	v_or_b32_e32 v13, v5, v13
	s_cmp_lg_u32 s18, s16
	v_or_b32_e32 v14, v6, v14
	s_cbranch_scc1 .LBB3_38
	s_branch .LBB3_41
.LBB3_39:                               ;   in Loop: Header=BB3_28 Depth=1
                                        ; implicit-def: $vgpr13_vgpr14
                                        ; implicit-def: $sgpr19
	s_branch .LBB3_42
.LBB3_40:                               ;   in Loop: Header=BB3_28 Depth=1
	v_mov_b32_e32 v13, 0
	v_mov_b32_e32 v14, 0
.LBB3_41:                               ;   in Loop: Header=BB3_28 Depth=1
	s_mov_b32 s19, 0
	s_cbranch_execnz .LBB3_43
.LBB3_42:                               ;   in Loop: Header=BB3_28 Depth=1
	global_load_dwordx2 v[13:14], v29, s[4:5]
	s_add_i32 s19, s18, -8
	s_add_u32 s4, s4, 8
	s_addc_u32 s5, s5, 0
.LBB3_43:                               ;   in Loop: Header=BB3_28 Depth=1
	s_cmp_gt_u32 s19, 7
	s_cbranch_scc1 .LBB3_47
; %bb.44:                               ;   in Loop: Header=BB3_28 Depth=1
	s_cmp_eq_u32 s19, 0
	s_cbranch_scc1 .LBB3_48
; %bb.45:                               ;   in Loop: Header=BB3_28 Depth=1
	v_mov_b32_e32 v15, 0
	s_mov_b64 s[14:15], 0
	v_mov_b32_e32 v16, 0
	s_mov_b64 s[16:17], 0
.LBB3_46:                               ;   Parent Loop BB3_28 Depth=1
                                        ; =>  This Inner Loop Header: Depth=2
	s_add_u32 s20, s4, s16
	s_addc_u32 s21, s5, s17
	global_load_ubyte v5, v29, s[20:21]
	s_add_u32 s16, s16, 1
	s_addc_u32 s17, s17, 0
	s_waitcnt vmcnt(0)
	v_and_b32_e32 v28, 0xffff, v5
	v_lshlrev_b64 v[5:6], s14, v[28:29]
	s_add_u32 s14, s14, 8
	s_addc_u32 s15, s15, 0
	v_or_b32_e32 v15, v5, v15
	s_cmp_lg_u32 s19, s16
	v_or_b32_e32 v16, v6, v16
	s_cbranch_scc1 .LBB3_46
	s_branch .LBB3_49
.LBB3_47:                               ;   in Loop: Header=BB3_28 Depth=1
                                        ; implicit-def: $sgpr18
	s_branch .LBB3_50
.LBB3_48:                               ;   in Loop: Header=BB3_28 Depth=1
	v_mov_b32_e32 v15, 0
	v_mov_b32_e32 v16, 0
.LBB3_49:                               ;   in Loop: Header=BB3_28 Depth=1
	s_mov_b32 s18, 0
	s_cbranch_execnz .LBB3_51
.LBB3_50:                               ;   in Loop: Header=BB3_28 Depth=1
	global_load_dwordx2 v[15:16], v29, s[4:5]
	s_add_i32 s18, s19, -8
	s_add_u32 s4, s4, 8
	s_addc_u32 s5, s5, 0
.LBB3_51:                               ;   in Loop: Header=BB3_28 Depth=1
	s_cmp_gt_u32 s18, 7
	s_cbranch_scc1 .LBB3_55
; %bb.52:                               ;   in Loop: Header=BB3_28 Depth=1
	s_cmp_eq_u32 s18, 0
	s_cbranch_scc1 .LBB3_56
; %bb.53:                               ;   in Loop: Header=BB3_28 Depth=1
	v_mov_b32_e32 v17, 0
	s_mov_b64 s[14:15], 0
	v_mov_b32_e32 v18, 0
	s_mov_b64 s[16:17], 0
.LBB3_54:                               ;   Parent Loop BB3_28 Depth=1
                                        ; =>  This Inner Loop Header: Depth=2
	s_add_u32 s20, s4, s16
	s_addc_u32 s21, s5, s17
	global_load_ubyte v5, v29, s[20:21]
	s_add_u32 s16, s16, 1
	s_addc_u32 s17, s17, 0
	s_waitcnt vmcnt(0)
	v_and_b32_e32 v28, 0xffff, v5
	v_lshlrev_b64 v[5:6], s14, v[28:29]
	s_add_u32 s14, s14, 8
	s_addc_u32 s15, s15, 0
	v_or_b32_e32 v17, v5, v17
	s_cmp_lg_u32 s18, s16
	v_or_b32_e32 v18, v6, v18
	s_cbranch_scc1 .LBB3_54
	s_branch .LBB3_57
.LBB3_55:                               ;   in Loop: Header=BB3_28 Depth=1
                                        ; implicit-def: $vgpr17_vgpr18
                                        ; implicit-def: $sgpr19
	s_branch .LBB3_58
.LBB3_56:                               ;   in Loop: Header=BB3_28 Depth=1
	v_mov_b32_e32 v17, 0
	v_mov_b32_e32 v18, 0
.LBB3_57:                               ;   in Loop: Header=BB3_28 Depth=1
	s_mov_b32 s19, 0
	s_cbranch_execnz .LBB3_59
.LBB3_58:                               ;   in Loop: Header=BB3_28 Depth=1
	global_load_dwordx2 v[17:18], v29, s[4:5]
	s_add_i32 s19, s18, -8
	s_add_u32 s4, s4, 8
	s_addc_u32 s5, s5, 0
.LBB3_59:                               ;   in Loop: Header=BB3_28 Depth=1
	s_cmp_gt_u32 s19, 7
	s_cbranch_scc1 .LBB3_63
; %bb.60:                               ;   in Loop: Header=BB3_28 Depth=1
	s_cmp_eq_u32 s19, 0
	s_cbranch_scc1 .LBB3_64
; %bb.61:                               ;   in Loop: Header=BB3_28 Depth=1
	v_mov_b32_e32 v19, 0
	s_mov_b64 s[14:15], 0
	v_mov_b32_e32 v20, 0
	s_mov_b64 s[16:17], 0
.LBB3_62:                               ;   Parent Loop BB3_28 Depth=1
                                        ; =>  This Inner Loop Header: Depth=2
	s_add_u32 s20, s4, s16
	s_addc_u32 s21, s5, s17
	global_load_ubyte v5, v29, s[20:21]
	s_add_u32 s16, s16, 1
	s_addc_u32 s17, s17, 0
	s_waitcnt vmcnt(0)
	v_and_b32_e32 v28, 0xffff, v5
	v_lshlrev_b64 v[5:6], s14, v[28:29]
	s_add_u32 s14, s14, 8
	s_addc_u32 s15, s15, 0
	v_or_b32_e32 v19, v5, v19
	s_cmp_lg_u32 s19, s16
	v_or_b32_e32 v20, v6, v20
	s_cbranch_scc1 .LBB3_62
	s_branch .LBB3_65
.LBB3_63:                               ;   in Loop: Header=BB3_28 Depth=1
                                        ; implicit-def: $sgpr18
	s_branch .LBB3_66
.LBB3_64:                               ;   in Loop: Header=BB3_28 Depth=1
	v_mov_b32_e32 v19, 0
	v_mov_b32_e32 v20, 0
.LBB3_65:                               ;   in Loop: Header=BB3_28 Depth=1
	s_mov_b32 s18, 0
	s_cbranch_execnz .LBB3_67
.LBB3_66:                               ;   in Loop: Header=BB3_28 Depth=1
	global_load_dwordx2 v[19:20], v29, s[4:5]
	s_add_i32 s18, s19, -8
	s_add_u32 s4, s4, 8
	s_addc_u32 s5, s5, 0
.LBB3_67:                               ;   in Loop: Header=BB3_28 Depth=1
	s_cmp_gt_u32 s18, 7
	s_cbranch_scc1 .LBB3_71
; %bb.68:                               ;   in Loop: Header=BB3_28 Depth=1
	s_cmp_eq_u32 s18, 0
	s_cbranch_scc1 .LBB3_72
; %bb.69:                               ;   in Loop: Header=BB3_28 Depth=1
	v_mov_b32_e32 v21, 0
	s_mov_b64 s[14:15], 0
	v_mov_b32_e32 v22, 0
	s_mov_b64 s[16:17], 0
.LBB3_70:                               ;   Parent Loop BB3_28 Depth=1
                                        ; =>  This Inner Loop Header: Depth=2
	s_add_u32 s20, s4, s16
	s_addc_u32 s21, s5, s17
	global_load_ubyte v5, v29, s[20:21]
	s_add_u32 s16, s16, 1
	s_addc_u32 s17, s17, 0
	s_waitcnt vmcnt(0)
	v_and_b32_e32 v28, 0xffff, v5
	v_lshlrev_b64 v[5:6], s14, v[28:29]
	s_add_u32 s14, s14, 8
	s_addc_u32 s15, s15, 0
	v_or_b32_e32 v21, v5, v21
	s_cmp_lg_u32 s18, s16
	v_or_b32_e32 v22, v6, v22
	s_cbranch_scc1 .LBB3_70
	s_branch .LBB3_73
.LBB3_71:                               ;   in Loop: Header=BB3_28 Depth=1
                                        ; implicit-def: $vgpr21_vgpr22
                                        ; implicit-def: $sgpr19
	s_branch .LBB3_74
.LBB3_72:                               ;   in Loop: Header=BB3_28 Depth=1
	v_mov_b32_e32 v21, 0
	v_mov_b32_e32 v22, 0
.LBB3_73:                               ;   in Loop: Header=BB3_28 Depth=1
	s_mov_b32 s19, 0
	s_cbranch_execnz .LBB3_75
.LBB3_74:                               ;   in Loop: Header=BB3_28 Depth=1
	global_load_dwordx2 v[21:22], v29, s[4:5]
	s_add_i32 s19, s18, -8
	s_add_u32 s4, s4, 8
	s_addc_u32 s5, s5, 0
.LBB3_75:                               ;   in Loop: Header=BB3_28 Depth=1
	s_cmp_gt_u32 s19, 7
	s_cbranch_scc1 .LBB3_79
; %bb.76:                               ;   in Loop: Header=BB3_28 Depth=1
	s_cmp_eq_u32 s19, 0
	s_cbranch_scc1 .LBB3_80
; %bb.77:                               ;   in Loop: Header=BB3_28 Depth=1
	v_mov_b32_e32 v23, 0
	s_mov_b64 s[14:15], 0
	v_mov_b32_e32 v24, 0
	s_mov_b64 s[16:17], s[4:5]
.LBB3_78:                               ;   Parent Loop BB3_28 Depth=1
                                        ; =>  This Inner Loop Header: Depth=2
	global_load_ubyte v5, v29, s[16:17]
	s_add_i32 s19, s19, -1
	s_waitcnt vmcnt(0)
	v_and_b32_e32 v28, 0xffff, v5
	v_lshlrev_b64 v[5:6], s14, v[28:29]
	s_add_u32 s14, s14, 8
	s_addc_u32 s15, s15, 0
	s_add_u32 s16, s16, 1
	s_addc_u32 s17, s17, 0
	v_or_b32_e32 v23, v5, v23
	s_cmp_lg_u32 s19, 0
	v_or_b32_e32 v24, v6, v24
	s_cbranch_scc1 .LBB3_78
	s_branch .LBB3_81
.LBB3_79:                               ;   in Loop: Header=BB3_28 Depth=1
	s_branch .LBB3_82
.LBB3_80:                               ;   in Loop: Header=BB3_28 Depth=1
	v_mov_b32_e32 v23, 0
	v_mov_b32_e32 v24, 0
.LBB3_81:                               ;   in Loop: Header=BB3_28 Depth=1
	s_cbranch_execnz .LBB3_83
.LBB3_82:                               ;   in Loop: Header=BB3_28 Depth=1
	global_load_dwordx2 v[23:24], v29, s[4:5]
.LBB3_83:                               ;   in Loop: Header=BB3_28 Depth=1
	v_readfirstlane_b32 s4, v33
	s_waitcnt vmcnt(0)
	v_mov_b32_e32 v5, 0
	v_mov_b32_e32 v6, 0
	v_cmp_eq_u32_e64 s[4:5], s4, v33
	s_and_saveexec_b64 s[14:15], s[4:5]
	s_cbranch_execz .LBB3_89
; %bb.84:                               ;   in Loop: Header=BB3_28 Depth=1
	global_load_dwordx2 v[27:28], v29, s[6:7] offset:24 glc
	s_waitcnt vmcnt(0)
	buffer_wbinvl1_vol
	global_load_dwordx2 v[5:6], v29, s[6:7] offset:40
	global_load_dwordx2 v[9:10], v29, s[6:7]
	s_waitcnt vmcnt(1)
	v_and_b32_e32 v5, v5, v27
	v_and_b32_e32 v6, v6, v28
	v_mul_lo_u32 v6, v6, 24
	v_mul_hi_u32 v25, v5, 24
	v_mul_lo_u32 v5, v5, 24
	v_add_u32_e32 v6, v25, v6
	s_waitcnt vmcnt(0)
	v_add_co_u32_e32 v5, vcc, v9, v5
	v_addc_co_u32_e32 v6, vcc, v10, v6, vcc
	global_load_dwordx2 v[25:26], v[5:6], off glc
	s_waitcnt vmcnt(0)
	global_atomic_cmpswap_x2 v[5:6], v29, v[25:28], s[6:7] offset:24 glc
	s_waitcnt vmcnt(0)
	buffer_wbinvl1_vol
	v_cmp_ne_u64_e32 vcc, v[5:6], v[27:28]
	s_and_saveexec_b64 s[16:17], vcc
	s_cbranch_execz .LBB3_88
; %bb.85:                               ;   in Loop: Header=BB3_28 Depth=1
	s_mov_b64 s[18:19], 0
.LBB3_86:                               ;   Parent Loop BB3_28 Depth=1
                                        ; =>  This Inner Loop Header: Depth=2
	s_sleep 1
	global_load_dwordx2 v[9:10], v29, s[6:7] offset:40
	global_load_dwordx2 v[25:26], v29, s[6:7]
	v_mov_b32_e32 v28, v6
	v_mov_b32_e32 v27, v5
	s_waitcnt vmcnt(1)
	v_and_b32_e32 v5, v9, v27
	s_waitcnt vmcnt(0)
	v_mad_u64_u32 v[5:6], s[20:21], v5, 24, v[25:26]
	v_and_b32_e32 v9, v10, v28
	v_mad_u64_u32 v[9:10], s[20:21], v9, 24, v[6:7]
	v_mov_b32_e32 v6, v9
	global_load_dwordx2 v[25:26], v[5:6], off glc
	s_waitcnt vmcnt(0)
	global_atomic_cmpswap_x2 v[5:6], v29, v[25:28], s[6:7] offset:24 glc
	s_waitcnt vmcnt(0)
	buffer_wbinvl1_vol
	v_cmp_eq_u64_e32 vcc, v[5:6], v[27:28]
	s_or_b64 s[18:19], vcc, s[18:19]
	s_andn2_b64 exec, exec, s[18:19]
	s_cbranch_execnz .LBB3_86
; %bb.87:                               ;   in Loop: Header=BB3_28 Depth=1
	s_or_b64 exec, exec, s[18:19]
.LBB3_88:                               ;   in Loop: Header=BB3_28 Depth=1
	s_or_b64 exec, exec, s[16:17]
.LBB3_89:                               ;   in Loop: Header=BB3_28 Depth=1
	s_or_b64 exec, exec, s[14:15]
	global_load_dwordx2 v[9:10], v29, s[6:7] offset:40
	global_load_dwordx4 v[25:28], v29, s[6:7]
	v_readfirstlane_b32 s14, v5
	v_readfirstlane_b32 s15, v6
	s_mov_b64 s[16:17], exec
	s_waitcnt vmcnt(1)
	v_readfirstlane_b32 s18, v9
	v_readfirstlane_b32 s19, v10
	s_and_b64 s[18:19], s[14:15], s[18:19]
	s_mul_i32 s20, s19, 24
	s_mul_hi_u32 s21, s18, 24
	s_mul_i32 s22, s18, 24
	s_add_i32 s20, s21, s20
	v_mov_b32_e32 v5, s20
	s_waitcnt vmcnt(0)
	v_add_co_u32_e32 v30, vcc, s22, v25
	v_addc_co_u32_e32 v31, vcc, v26, v5, vcc
	s_and_saveexec_b64 s[20:21], s[4:5]
	s_cbranch_execz .LBB3_91
; %bb.90:                               ;   in Loop: Header=BB3_28 Depth=1
	v_mov_b32_e32 v5, s16
	v_mov_b32_e32 v6, s17
	global_store_dwordx4 v[30:31], v[5:8], off offset:8
.LBB3_91:                               ;   in Loop: Header=BB3_28 Depth=1
	s_or_b64 exec, exec, s[20:21]
	s_lshl_b64 s[16:17], s[18:19], 12
	v_mov_b32_e32 v5, s17
	v_add_co_u32_e32 v27, vcc, s16, v27
	v_addc_co_u32_e32 v35, vcc, v28, v5, vcc
	v_cmp_gt_u64_e64 vcc, s[10:11], 56
	v_or_b32_e32 v6, v3, v34
	s_lshl_b32 s16, s12, 2
	v_cndmask_b32_e32 v3, v6, v3, vcc
	s_add_i32 s16, s16, 28
	v_or_b32_e32 v5, 0, v4
	s_and_b32 s16, s16, 0x1e0
	v_and_b32_e32 v3, 0xffffff1f, v3
	v_cndmask_b32_e32 v10, v5, v4, vcc
	v_or_b32_e32 v9, s16, v3
	v_readfirstlane_b32 s16, v27
	v_readfirstlane_b32 s17, v35
	s_nop 4
	global_store_dwordx4 v32, v[9:12], s[16:17]
	global_store_dwordx4 v32, v[13:16], s[16:17] offset:16
	global_store_dwordx4 v32, v[17:20], s[16:17] offset:32
	;; [unrolled: 1-line block ×3, first 2 shown]
	s_and_saveexec_b64 s[16:17], s[4:5]
	s_cbranch_execz .LBB3_99
; %bb.92:                               ;   in Loop: Header=BB3_28 Depth=1
	global_load_dwordx2 v[13:14], v29, s[6:7] offset:32 glc
	global_load_dwordx2 v[3:4], v29, s[6:7] offset:40
	v_mov_b32_e32 v11, s14
	v_mov_b32_e32 v12, s15
	s_waitcnt vmcnt(0)
	v_readfirstlane_b32 s18, v3
	v_readfirstlane_b32 s19, v4
	s_and_b64 s[18:19], s[18:19], s[14:15]
	s_mul_i32 s19, s19, 24
	s_mul_hi_u32 s20, s18, 24
	s_mul_i32 s18, s18, 24
	s_add_i32 s19, s20, s19
	v_mov_b32_e32 v3, s19
	v_add_co_u32_e32 v9, vcc, s18, v25
	v_addc_co_u32_e32 v10, vcc, v26, v3, vcc
	global_store_dwordx2 v[9:10], v[13:14], off
	s_waitcnt vmcnt(0)
	global_atomic_cmpswap_x2 v[5:6], v29, v[11:14], s[6:7] offset:32 glc
	s_waitcnt vmcnt(0)
	v_cmp_ne_u64_e32 vcc, v[5:6], v[13:14]
	s_and_saveexec_b64 s[18:19], vcc
	s_cbranch_execz .LBB3_95
; %bb.93:                               ;   in Loop: Header=BB3_28 Depth=1
	s_mov_b64 s[20:21], 0
.LBB3_94:                               ;   Parent Loop BB3_28 Depth=1
                                        ; =>  This Inner Loop Header: Depth=2
	s_sleep 1
	global_store_dwordx2 v[9:10], v[5:6], off
	v_mov_b32_e32 v3, s14
	v_mov_b32_e32 v4, s15
	s_waitcnt vmcnt(0)
	global_atomic_cmpswap_x2 v[3:4], v29, v[3:6], s[6:7] offset:32 glc
	s_waitcnt vmcnt(0)
	v_cmp_eq_u64_e32 vcc, v[3:4], v[5:6]
	v_mov_b32_e32 v6, v4
	s_or_b64 s[20:21], vcc, s[20:21]
	v_mov_b32_e32 v5, v3
	s_andn2_b64 exec, exec, s[20:21]
	s_cbranch_execnz .LBB3_94
.LBB3_95:                               ;   in Loop: Header=BB3_28 Depth=1
	s_or_b64 exec, exec, s[18:19]
	global_load_dwordx2 v[3:4], v29, s[6:7] offset:16
	s_mov_b64 s[20:21], exec
	v_mbcnt_lo_u32_b32 v5, s20, 0
	v_mbcnt_hi_u32_b32 v5, s21, v5
	v_cmp_eq_u32_e32 vcc, 0, v5
	s_and_saveexec_b64 s[18:19], vcc
	s_cbranch_execz .LBB3_97
; %bb.96:                               ;   in Loop: Header=BB3_28 Depth=1
	s_bcnt1_i32_b64 s20, s[20:21]
	v_mov_b32_e32 v28, s20
	s_waitcnt vmcnt(0)
	global_atomic_add_x2 v[3:4], v[28:29], off offset:8
.LBB3_97:                               ;   in Loop: Header=BB3_28 Depth=1
	s_or_b64 exec, exec, s[18:19]
	s_waitcnt vmcnt(0)
	global_load_dwordx2 v[5:6], v[3:4], off offset:16
	s_waitcnt vmcnt(0)
	v_cmp_eq_u64_e32 vcc, 0, v[5:6]
	s_cbranch_vccnz .LBB3_99
; %bb.98:                               ;   in Loop: Header=BB3_28 Depth=1
	global_load_dword v28, v[3:4], off offset:24
	s_waitcnt vmcnt(0)
	v_and_b32_e32 v3, 0xffffff, v28
	v_readfirstlane_b32 m0, v3
	global_store_dwordx2 v[5:6], v[28:29], off
	s_sendmsg sendmsg(MSG_INTERRUPT)
.LBB3_99:                               ;   in Loop: Header=BB3_28 Depth=1
	s_or_b64 exec, exec, s[16:17]
	v_add_co_u32_e32 v3, vcc, v27, v32
	v_addc_co_u32_e32 v4, vcc, 0, v35, vcc
	s_branch .LBB3_103
.LBB3_100:                              ;   in Loop: Header=BB3_103 Depth=2
	s_or_b64 exec, exec, s[16:17]
	v_readfirstlane_b32 s16, v5
	s_cmp_eq_u32 s16, 0
	s_cbranch_scc1 .LBB3_102
; %bb.101:                              ;   in Loop: Header=BB3_103 Depth=2
	s_sleep 1
	s_cbranch_execnz .LBB3_103
	s_branch .LBB3_105
.LBB3_102:                              ;   in Loop: Header=BB3_28 Depth=1
	s_branch .LBB3_105
.LBB3_103:                              ;   Parent Loop BB3_28 Depth=1
                                        ; =>  This Inner Loop Header: Depth=2
	v_mov_b32_e32 v5, 1
	s_and_saveexec_b64 s[16:17], s[4:5]
	s_cbranch_execz .LBB3_100
; %bb.104:                              ;   in Loop: Header=BB3_103 Depth=2
	global_load_dword v5, v[30:31], off offset:20 glc
	s_waitcnt vmcnt(0)
	buffer_wbinvl1_vol
	v_and_b32_e32 v5, 1, v5
	s_branch .LBB3_100
.LBB3_105:                              ;   in Loop: Header=BB3_28 Depth=1
	global_load_dwordx4 v[3:6], v[3:4], off
	s_and_saveexec_b64 s[16:17], s[4:5]
	s_cbranch_execz .LBB3_27
; %bb.106:                              ;   in Loop: Header=BB3_28 Depth=1
	global_load_dwordx2 v[5:6], v29, s[6:7] offset:40
	global_load_dwordx2 v[13:14], v29, s[6:7] offset:24 glc
	global_load_dwordx2 v[15:16], v29, s[6:7]
	v_mov_b32_e32 v10, s15
	s_waitcnt vmcnt(2)
	v_add_co_u32_e32 v11, vcc, 1, v5
	v_addc_co_u32_e32 v12, vcc, 0, v6, vcc
	v_add_co_u32_e32 v9, vcc, s14, v11
	v_addc_co_u32_e32 v10, vcc, v12, v10, vcc
	v_cmp_eq_u64_e32 vcc, 0, v[9:10]
	v_cndmask_b32_e32 v10, v10, v12, vcc
	v_cndmask_b32_e32 v9, v9, v11, vcc
	v_and_b32_e32 v6, v10, v6
	v_and_b32_e32 v5, v9, v5
	v_mul_lo_u32 v6, v6, 24
	v_mul_hi_u32 v12, v5, 24
	v_mul_lo_u32 v5, v5, 24
	s_waitcnt vmcnt(1)
	v_mov_b32_e32 v11, v13
	v_add_u32_e32 v6, v12, v6
	s_waitcnt vmcnt(0)
	v_add_co_u32_e32 v5, vcc, v15, v5
	v_addc_co_u32_e32 v6, vcc, v16, v6, vcc
	global_store_dwordx2 v[5:6], v[13:14], off
	v_mov_b32_e32 v12, v14
	s_waitcnt vmcnt(0)
	global_atomic_cmpswap_x2 v[11:12], v29, v[9:12], s[6:7] offset:24 glc
	s_waitcnt vmcnt(0)
	v_cmp_ne_u64_e32 vcc, v[11:12], v[13:14]
	s_and_b64 exec, exec, vcc
	s_cbranch_execz .LBB3_27
; %bb.107:                              ;   in Loop: Header=BB3_28 Depth=1
	s_mov_b64 s[4:5], 0
.LBB3_108:                              ;   Parent Loop BB3_28 Depth=1
                                        ; =>  This Inner Loop Header: Depth=2
	s_sleep 1
	global_store_dwordx2 v[5:6], v[11:12], off
	s_waitcnt vmcnt(0)
	global_atomic_cmpswap_x2 v[13:14], v29, v[9:12], s[6:7] offset:24 glc
	s_waitcnt vmcnt(0)
	v_cmp_eq_u64_e32 vcc, v[13:14], v[11:12]
	v_mov_b32_e32 v11, v13
	s_or_b64 s[4:5], vcc, s[4:5]
	v_mov_b32_e32 v12, v14
	s_andn2_b64 exec, exec, s[4:5]
	s_cbranch_execnz .LBB3_108
	s_branch .LBB3_27
.LBB3_109:
	s_branch .LBB3_137
.LBB3_110:
                                        ; implicit-def: $vgpr3_vgpr4
	s_cbranch_execz .LBB3_137
; %bb.111:
	v_readfirstlane_b32 s4, v33
	v_mov_b32_e32 v9, 0
	v_mov_b32_e32 v10, 0
	v_cmp_eq_u32_e64 s[4:5], s4, v33
	s_and_saveexec_b64 s[8:9], s[4:5]
	s_cbranch_execz .LBB3_117
; %bb.112:
	s_waitcnt vmcnt(0)
	v_mov_b32_e32 v3, 0
	global_load_dwordx2 v[6:7], v3, s[6:7] offset:24 glc
	s_waitcnt vmcnt(0)
	buffer_wbinvl1_vol
	global_load_dwordx2 v[4:5], v3, s[6:7] offset:40
	global_load_dwordx2 v[8:9], v3, s[6:7]
	s_waitcnt vmcnt(1)
	v_and_b32_e32 v4, v4, v6
	v_and_b32_e32 v5, v5, v7
	v_mul_lo_u32 v5, v5, 24
	v_mul_hi_u32 v10, v4, 24
	v_mul_lo_u32 v4, v4, 24
	v_add_u32_e32 v5, v10, v5
	s_waitcnt vmcnt(0)
	v_add_co_u32_e32 v4, vcc, v8, v4
	v_addc_co_u32_e32 v5, vcc, v9, v5, vcc
	global_load_dwordx2 v[4:5], v[4:5], off glc
	s_waitcnt vmcnt(0)
	global_atomic_cmpswap_x2 v[9:10], v3, v[4:7], s[6:7] offset:24 glc
	s_waitcnt vmcnt(0)
	buffer_wbinvl1_vol
	v_cmp_ne_u64_e32 vcc, v[9:10], v[6:7]
	s_and_saveexec_b64 s[10:11], vcc
	s_cbranch_execz .LBB3_116
; %bb.113:
	s_mov_b64 s[12:13], 0
.LBB3_114:                              ; =>This Inner Loop Header: Depth=1
	s_sleep 1
	global_load_dwordx2 v[4:5], v3, s[6:7] offset:40
	global_load_dwordx2 v[11:12], v3, s[6:7]
	v_mov_b32_e32 v6, v9
	v_mov_b32_e32 v7, v10
	s_waitcnt vmcnt(1)
	v_and_b32_e32 v4, v4, v6
	s_waitcnt vmcnt(0)
	v_mad_u64_u32 v[8:9], s[14:15], v4, 24, v[11:12]
	v_and_b32_e32 v5, v5, v7
	v_mov_b32_e32 v4, v9
	v_mad_u64_u32 v[4:5], s[14:15], v5, 24, v[4:5]
	v_mov_b32_e32 v9, v4
	global_load_dwordx2 v[4:5], v[8:9], off glc
	s_waitcnt vmcnt(0)
	global_atomic_cmpswap_x2 v[9:10], v3, v[4:7], s[6:7] offset:24 glc
	s_waitcnt vmcnt(0)
	buffer_wbinvl1_vol
	v_cmp_eq_u64_e32 vcc, v[9:10], v[6:7]
	s_or_b64 s[12:13], vcc, s[12:13]
	s_andn2_b64 exec, exec, s[12:13]
	s_cbranch_execnz .LBB3_114
; %bb.115:
	s_or_b64 exec, exec, s[12:13]
.LBB3_116:
	s_or_b64 exec, exec, s[10:11]
.LBB3_117:
	s_or_b64 exec, exec, s[8:9]
	s_waitcnt vmcnt(0)
	v_mov_b32_e32 v3, 0
	global_load_dwordx2 v[11:12], v3, s[6:7] offset:40
	global_load_dwordx4 v[5:8], v3, s[6:7]
	v_readfirstlane_b32 s8, v9
	v_readfirstlane_b32 s9, v10
	s_mov_b64 s[10:11], exec
	s_waitcnt vmcnt(1)
	v_readfirstlane_b32 s12, v11
	v_readfirstlane_b32 s13, v12
	s_and_b64 s[12:13], s[8:9], s[12:13]
	s_mul_i32 s14, s13, 24
	s_mul_hi_u32 s15, s12, 24
	s_mul_i32 s16, s12, 24
	s_add_i32 s14, s15, s14
	v_mov_b32_e32 v4, s14
	s_waitcnt vmcnt(0)
	v_add_co_u32_e32 v9, vcc, s16, v5
	v_addc_co_u32_e32 v10, vcc, v6, v4, vcc
	s_and_saveexec_b64 s[14:15], s[4:5]
	s_cbranch_execz .LBB3_119
; %bb.118:
	v_mov_b32_e32 v12, s11
	v_mov_b32_e32 v11, s10
	;; [unrolled: 1-line block ×4, first 2 shown]
	global_store_dwordx4 v[9:10], v[11:14], off offset:8
.LBB3_119:
	s_or_b64 exec, exec, s[14:15]
	s_lshl_b64 s[10:11], s[12:13], 12
	v_mov_b32_e32 v4, s11
	v_add_co_u32_e32 v11, vcc, s10, v7
	v_addc_co_u32_e32 v12, vcc, v8, v4, vcc
	s_movk_i32 s10, 0xff1f
	v_and_or_b32 v1, v1, s10, 32
	s_mov_b32 s12, 0
	v_mov_b32_e32 v4, v3
	v_readfirstlane_b32 s10, v11
	v_readfirstlane_b32 s11, v12
	v_add_co_u32_e32 v7, vcc, v11, v32
	s_mov_b32 s13, s12
	s_mov_b32 s14, s12
	;; [unrolled: 1-line block ×3, first 2 shown]
	s_nop 0
	global_store_dwordx4 v32, v[1:4], s[10:11]
	v_addc_co_u32_e32 v8, vcc, 0, v12, vcc
	v_mov_b32_e32 v1, s12
	v_mov_b32_e32 v2, s13
	;; [unrolled: 1-line block ×4, first 2 shown]
	global_store_dwordx4 v32, v[1:4], s[10:11] offset:16
	global_store_dwordx4 v32, v[1:4], s[10:11] offset:32
	;; [unrolled: 1-line block ×3, first 2 shown]
	s_and_saveexec_b64 s[10:11], s[4:5]
	s_cbranch_execz .LBB3_127
; %bb.120:
	v_mov_b32_e32 v11, 0
	global_load_dwordx2 v[14:15], v11, s[6:7] offset:32 glc
	global_load_dwordx2 v[1:2], v11, s[6:7] offset:40
	v_mov_b32_e32 v12, s8
	v_mov_b32_e32 v13, s9
	s_waitcnt vmcnt(0)
	v_readfirstlane_b32 s12, v1
	v_readfirstlane_b32 s13, v2
	s_and_b64 s[12:13], s[12:13], s[8:9]
	s_mul_i32 s13, s13, 24
	s_mul_hi_u32 s14, s12, 24
	s_mul_i32 s12, s12, 24
	s_add_i32 s13, s14, s13
	v_mov_b32_e32 v1, s13
	v_add_co_u32_e32 v5, vcc, s12, v5
	v_addc_co_u32_e32 v6, vcc, v6, v1, vcc
	global_store_dwordx2 v[5:6], v[14:15], off
	s_waitcnt vmcnt(0)
	global_atomic_cmpswap_x2 v[3:4], v11, v[12:15], s[6:7] offset:32 glc
	s_waitcnt vmcnt(0)
	v_cmp_ne_u64_e32 vcc, v[3:4], v[14:15]
	s_and_saveexec_b64 s[12:13], vcc
	s_cbranch_execz .LBB3_123
; %bb.121:
	s_mov_b64 s[14:15], 0
.LBB3_122:                              ; =>This Inner Loop Header: Depth=1
	s_sleep 1
	global_store_dwordx2 v[5:6], v[3:4], off
	v_mov_b32_e32 v1, s8
	v_mov_b32_e32 v2, s9
	s_waitcnt vmcnt(0)
	global_atomic_cmpswap_x2 v[1:2], v11, v[1:4], s[6:7] offset:32 glc
	s_waitcnt vmcnt(0)
	v_cmp_eq_u64_e32 vcc, v[1:2], v[3:4]
	v_mov_b32_e32 v4, v2
	s_or_b64 s[14:15], vcc, s[14:15]
	v_mov_b32_e32 v3, v1
	s_andn2_b64 exec, exec, s[14:15]
	s_cbranch_execnz .LBB3_122
.LBB3_123:
	s_or_b64 exec, exec, s[12:13]
	v_mov_b32_e32 v4, 0
	global_load_dwordx2 v[1:2], v4, s[6:7] offset:16
	s_mov_b64 s[12:13], exec
	v_mbcnt_lo_u32_b32 v3, s12, 0
	v_mbcnt_hi_u32_b32 v3, s13, v3
	v_cmp_eq_u32_e32 vcc, 0, v3
	s_and_saveexec_b64 s[14:15], vcc
	s_cbranch_execz .LBB3_125
; %bb.124:
	s_bcnt1_i32_b64 s12, s[12:13]
	v_mov_b32_e32 v3, s12
	s_waitcnt vmcnt(0)
	global_atomic_add_x2 v[1:2], v[3:4], off offset:8
.LBB3_125:
	s_or_b64 exec, exec, s[14:15]
	s_waitcnt vmcnt(0)
	global_load_dwordx2 v[3:4], v[1:2], off offset:16
	s_waitcnt vmcnt(0)
	v_cmp_eq_u64_e32 vcc, 0, v[3:4]
	s_cbranch_vccnz .LBB3_127
; %bb.126:
	global_load_dword v1, v[1:2], off offset:24
	v_mov_b32_e32 v2, 0
	s_waitcnt vmcnt(0)
	global_store_dwordx2 v[3:4], v[1:2], off
	v_and_b32_e32 v1, 0xffffff, v1
	v_readfirstlane_b32 m0, v1
	s_sendmsg sendmsg(MSG_INTERRUPT)
.LBB3_127:
	s_or_b64 exec, exec, s[10:11]
	s_branch .LBB3_131
.LBB3_128:                              ;   in Loop: Header=BB3_131 Depth=1
	s_or_b64 exec, exec, s[10:11]
	v_readfirstlane_b32 s10, v1
	s_cmp_eq_u32 s10, 0
	s_cbranch_scc1 .LBB3_130
; %bb.129:                              ;   in Loop: Header=BB3_131 Depth=1
	s_sleep 1
	s_cbranch_execnz .LBB3_131
	s_branch .LBB3_133
.LBB3_130:
	s_branch .LBB3_133
.LBB3_131:                              ; =>This Inner Loop Header: Depth=1
	v_mov_b32_e32 v1, 1
	s_and_saveexec_b64 s[10:11], s[4:5]
	s_cbranch_execz .LBB3_128
; %bb.132:                              ;   in Loop: Header=BB3_131 Depth=1
	global_load_dword v1, v[9:10], off offset:20 glc
	s_waitcnt vmcnt(0)
	buffer_wbinvl1_vol
	v_and_b32_e32 v1, 1, v1
	s_branch .LBB3_128
.LBB3_133:
	global_load_dwordx2 v[3:4], v[7:8], off
	s_and_saveexec_b64 s[10:11], s[4:5]
	s_cbranch_execz .LBB3_136
; %bb.134:
	v_mov_b32_e32 v9, 0
	global_load_dwordx2 v[1:2], v9, s[6:7] offset:40
	global_load_dwordx2 v[10:11], v9, s[6:7] offset:24 glc
	global_load_dwordx2 v[12:13], v9, s[6:7]
	v_mov_b32_e32 v6, s9
	s_mov_b64 s[4:5], 0
	s_waitcnt vmcnt(2)
	v_add_co_u32_e32 v7, vcc, 1, v1
	v_addc_co_u32_e32 v8, vcc, 0, v2, vcc
	v_add_co_u32_e32 v5, vcc, s8, v7
	v_addc_co_u32_e32 v6, vcc, v8, v6, vcc
	v_cmp_eq_u64_e32 vcc, 0, v[5:6]
	v_cndmask_b32_e32 v6, v6, v8, vcc
	v_cndmask_b32_e32 v5, v5, v7, vcc
	v_and_b32_e32 v2, v6, v2
	v_and_b32_e32 v1, v5, v1
	v_mul_lo_u32 v2, v2, 24
	v_mul_hi_u32 v8, v1, 24
	v_mul_lo_u32 v1, v1, 24
	s_waitcnt vmcnt(1)
	v_mov_b32_e32 v7, v10
	v_add_u32_e32 v2, v8, v2
	s_waitcnt vmcnt(0)
	v_add_co_u32_e32 v1, vcc, v12, v1
	v_addc_co_u32_e32 v2, vcc, v13, v2, vcc
	global_store_dwordx2 v[1:2], v[10:11], off
	v_mov_b32_e32 v8, v11
	s_waitcnt vmcnt(0)
	global_atomic_cmpswap_x2 v[7:8], v9, v[5:8], s[6:7] offset:24 glc
	s_waitcnt vmcnt(0)
	v_cmp_ne_u64_e32 vcc, v[7:8], v[10:11]
	s_and_b64 exec, exec, vcc
	s_cbranch_execz .LBB3_136
.LBB3_135:                              ; =>This Inner Loop Header: Depth=1
	s_sleep 1
	global_store_dwordx2 v[1:2], v[7:8], off
	s_waitcnt vmcnt(0)
	global_atomic_cmpswap_x2 v[10:11], v9, v[5:8], s[6:7] offset:24 glc
	s_waitcnt vmcnt(0)
	v_cmp_eq_u64_e32 vcc, v[10:11], v[7:8]
	v_mov_b32_e32 v7, v10
	s_or_b64 s[4:5], vcc, s[4:5]
	v_mov_b32_e32 v8, v11
	s_andn2_b64 exec, exec, s[4:5]
	s_cbranch_execnz .LBB3_135
.LBB3_136:
	s_or_b64 exec, exec, s[10:11]
.LBB3_137:
	v_readfirstlane_b32 s4, v33
	s_waitcnt vmcnt(0)
	v_mov_b32_e32 v1, 0
	v_mov_b32_e32 v2, 0
	v_cmp_eq_u32_e64 s[4:5], s4, v33
	s_and_saveexec_b64 s[8:9], s[4:5]
	s_cbranch_execz .LBB3_143
; %bb.138:
	v_mov_b32_e32 v5, 0
	global_load_dwordx2 v[8:9], v5, s[6:7] offset:24 glc
	s_waitcnt vmcnt(0)
	buffer_wbinvl1_vol
	global_load_dwordx2 v[1:2], v5, s[6:7] offset:40
	global_load_dwordx2 v[6:7], v5, s[6:7]
	s_waitcnt vmcnt(1)
	v_and_b32_e32 v1, v1, v8
	v_and_b32_e32 v2, v2, v9
	v_mul_lo_u32 v2, v2, 24
	v_mul_hi_u32 v10, v1, 24
	v_mul_lo_u32 v1, v1, 24
	v_add_u32_e32 v2, v10, v2
	s_waitcnt vmcnt(0)
	v_add_co_u32_e32 v1, vcc, v6, v1
	v_addc_co_u32_e32 v2, vcc, v7, v2, vcc
	global_load_dwordx2 v[6:7], v[1:2], off glc
	s_waitcnt vmcnt(0)
	global_atomic_cmpswap_x2 v[1:2], v5, v[6:9], s[6:7] offset:24 glc
	s_waitcnt vmcnt(0)
	buffer_wbinvl1_vol
	v_cmp_ne_u64_e32 vcc, v[1:2], v[8:9]
	s_and_saveexec_b64 s[10:11], vcc
	s_cbranch_execz .LBB3_142
; %bb.139:
	s_mov_b64 s[12:13], 0
.LBB3_140:                              ; =>This Inner Loop Header: Depth=1
	s_sleep 1
	global_load_dwordx2 v[6:7], v5, s[6:7] offset:40
	global_load_dwordx2 v[10:11], v5, s[6:7]
	v_mov_b32_e32 v9, v2
	v_mov_b32_e32 v8, v1
	s_waitcnt vmcnt(1)
	v_and_b32_e32 v1, v6, v8
	s_waitcnt vmcnt(0)
	v_mad_u64_u32 v[1:2], s[14:15], v1, 24, v[10:11]
	v_and_b32_e32 v6, v7, v9
	v_mad_u64_u32 v[6:7], s[14:15], v6, 24, v[2:3]
	v_mov_b32_e32 v2, v6
	global_load_dwordx2 v[6:7], v[1:2], off glc
	s_waitcnt vmcnt(0)
	global_atomic_cmpswap_x2 v[1:2], v5, v[6:9], s[6:7] offset:24 glc
	s_waitcnt vmcnt(0)
	buffer_wbinvl1_vol
	v_cmp_eq_u64_e32 vcc, v[1:2], v[8:9]
	s_or_b64 s[12:13], vcc, s[12:13]
	s_andn2_b64 exec, exec, s[12:13]
	s_cbranch_execnz .LBB3_140
; %bb.141:
	s_or_b64 exec, exec, s[12:13]
.LBB3_142:
	s_or_b64 exec, exec, s[10:11]
.LBB3_143:
	s_or_b64 exec, exec, s[8:9]
	v_mov_b32_e32 v6, 0
	global_load_dwordx2 v[11:12], v6, s[6:7] offset:40
	global_load_dwordx4 v[7:10], v6, s[6:7]
	v_readfirstlane_b32 s8, v1
	v_readfirstlane_b32 s9, v2
	s_mov_b64 s[10:11], exec
	s_waitcnt vmcnt(1)
	v_readfirstlane_b32 s12, v11
	v_readfirstlane_b32 s13, v12
	s_and_b64 s[12:13], s[8:9], s[12:13]
	s_mul_i32 s14, s13, 24
	s_mul_hi_u32 s15, s12, 24
	s_mul_i32 s16, s12, 24
	s_add_i32 s14, s15, s14
	v_mov_b32_e32 v1, s14
	s_waitcnt vmcnt(0)
	v_add_co_u32_e32 v11, vcc, s16, v7
	v_addc_co_u32_e32 v12, vcc, v8, v1, vcc
	s_and_saveexec_b64 s[14:15], s[4:5]
	s_cbranch_execz .LBB3_145
; %bb.144:
	v_mov_b32_e32 v14, s11
	v_mov_b32_e32 v13, s10
	;; [unrolled: 1-line block ×4, first 2 shown]
	global_store_dwordx4 v[11:12], v[13:16], off offset:8
.LBB3_145:
	s_or_b64 exec, exec, s[14:15]
	s_lshl_b64 s[10:11], s[12:13], 12
	v_mov_b32_e32 v1, s11
	v_add_co_u32_e32 v2, vcc, s10, v9
	v_addc_co_u32_e32 v1, vcc, v10, v1, vcc
	s_movk_i32 s10, 0xff1d
	v_bfe_i32 v5, v0, 0, 16
	v_and_or_b32 v3, v3, s10, 34
	s_mov_b32 s12, 0
	v_readfirstlane_b32 s10, v2
	v_readfirstlane_b32 s11, v1
	s_mov_b32 s13, s12
	s_mov_b32 s14, s12
	;; [unrolled: 1-line block ×3, first 2 shown]
	s_nop 1
	global_store_dwordx4 v32, v[3:6], s[10:11]
	v_mov_b32_e32 v0, s12
	v_mov_b32_e32 v1, s13
	;; [unrolled: 1-line block ×4, first 2 shown]
	global_store_dwordx4 v32, v[0:3], s[10:11] offset:16
	global_store_dwordx4 v32, v[0:3], s[10:11] offset:32
	;; [unrolled: 1-line block ×3, first 2 shown]
	s_and_saveexec_b64 s[10:11], s[4:5]
	s_cbranch_execz .LBB3_153
; %bb.146:
	v_mov_b32_e32 v6, 0
	global_load_dwordx2 v[15:16], v6, s[6:7] offset:32 glc
	global_load_dwordx2 v[0:1], v6, s[6:7] offset:40
	v_mov_b32_e32 v13, s8
	v_mov_b32_e32 v14, s9
	s_waitcnt vmcnt(0)
	v_readfirstlane_b32 s12, v0
	v_readfirstlane_b32 s13, v1
	s_and_b64 s[12:13], s[12:13], s[8:9]
	s_mul_i32 s13, s13, 24
	s_mul_hi_u32 s14, s12, 24
	s_mul_i32 s12, s12, 24
	s_add_i32 s13, s14, s13
	v_mov_b32_e32 v0, s13
	v_add_co_u32_e32 v4, vcc, s12, v7
	v_addc_co_u32_e32 v5, vcc, v8, v0, vcc
	global_store_dwordx2 v[4:5], v[15:16], off
	s_waitcnt vmcnt(0)
	global_atomic_cmpswap_x2 v[2:3], v6, v[13:16], s[6:7] offset:32 glc
	s_waitcnt vmcnt(0)
	v_cmp_ne_u64_e32 vcc, v[2:3], v[15:16]
	s_and_saveexec_b64 s[12:13], vcc
	s_cbranch_execz .LBB3_149
; %bb.147:
	s_mov_b64 s[14:15], 0
.LBB3_148:                              ; =>This Inner Loop Header: Depth=1
	s_sleep 1
	global_store_dwordx2 v[4:5], v[2:3], off
	v_mov_b32_e32 v0, s8
	v_mov_b32_e32 v1, s9
	s_waitcnt vmcnt(0)
	global_atomic_cmpswap_x2 v[0:1], v6, v[0:3], s[6:7] offset:32 glc
	s_waitcnt vmcnt(0)
	v_cmp_eq_u64_e32 vcc, v[0:1], v[2:3]
	v_mov_b32_e32 v3, v1
	s_or_b64 s[14:15], vcc, s[14:15]
	v_mov_b32_e32 v2, v0
	s_andn2_b64 exec, exec, s[14:15]
	s_cbranch_execnz .LBB3_148
.LBB3_149:
	s_or_b64 exec, exec, s[12:13]
	v_mov_b32_e32 v3, 0
	global_load_dwordx2 v[0:1], v3, s[6:7] offset:16
	s_mov_b64 s[12:13], exec
	v_mbcnt_lo_u32_b32 v2, s12, 0
	v_mbcnt_hi_u32_b32 v2, s13, v2
	v_cmp_eq_u32_e32 vcc, 0, v2
	s_and_saveexec_b64 s[14:15], vcc
	s_cbranch_execz .LBB3_151
; %bb.150:
	s_bcnt1_i32_b64 s12, s[12:13]
	v_mov_b32_e32 v2, s12
	s_waitcnt vmcnt(0)
	global_atomic_add_x2 v[0:1], v[2:3], off offset:8
.LBB3_151:
	s_or_b64 exec, exec, s[14:15]
	s_waitcnt vmcnt(0)
	global_load_dwordx2 v[2:3], v[0:1], off offset:16
	s_waitcnt vmcnt(0)
	v_cmp_eq_u64_e32 vcc, 0, v[2:3]
	s_cbranch_vccnz .LBB3_153
; %bb.152:
	global_load_dword v0, v[0:1], off offset:24
	v_mov_b32_e32 v1, 0
	s_waitcnt vmcnt(0)
	global_store_dwordx2 v[2:3], v[0:1], off
	v_and_b32_e32 v0, 0xffffff, v0
	v_readfirstlane_b32 m0, v0
	s_sendmsg sendmsg(MSG_INTERRUPT)
.LBB3_153:
	s_or_b64 exec, exec, s[10:11]
	s_branch .LBB3_157
.LBB3_154:                              ;   in Loop: Header=BB3_157 Depth=1
	s_or_b64 exec, exec, s[10:11]
	v_readfirstlane_b32 s10, v0
	s_cmp_eq_u32 s10, 0
	s_cbranch_scc1 .LBB3_156
; %bb.155:                              ;   in Loop: Header=BB3_157 Depth=1
	s_sleep 1
	s_cbranch_execnz .LBB3_157
	s_branch .LBB3_159
.LBB3_156:
	s_branch .LBB3_159
.LBB3_157:                              ; =>This Inner Loop Header: Depth=1
	v_mov_b32_e32 v0, 1
	s_and_saveexec_b64 s[10:11], s[4:5]
	s_cbranch_execz .LBB3_154
; %bb.158:                              ;   in Loop: Header=BB3_157 Depth=1
	global_load_dword v0, v[11:12], off offset:20 glc
	s_waitcnt vmcnt(0)
	buffer_wbinvl1_vol
	v_and_b32_e32 v0, 1, v0
	s_branch .LBB3_154
.LBB3_159:
	s_and_saveexec_b64 s[10:11], s[4:5]
	s_cbranch_execz .LBB3_162
; %bb.160:
	v_mov_b32_e32 v6, 0
	global_load_dwordx2 v[2:3], v6, s[6:7] offset:40
	global_load_dwordx2 v[7:8], v6, s[6:7] offset:24 glc
	global_load_dwordx2 v[4:5], v6, s[6:7]
	v_mov_b32_e32 v1, s9
	s_mov_b64 s[4:5], 0
	s_waitcnt vmcnt(2)
	v_add_co_u32_e32 v9, vcc, 1, v2
	v_addc_co_u32_e32 v10, vcc, 0, v3, vcc
	v_add_co_u32_e32 v0, vcc, s8, v9
	v_addc_co_u32_e32 v1, vcc, v10, v1, vcc
	v_cmp_eq_u64_e32 vcc, 0, v[0:1]
	v_cndmask_b32_e32 v1, v1, v10, vcc
	v_cndmask_b32_e32 v0, v0, v9, vcc
	v_and_b32_e32 v3, v1, v3
	v_and_b32_e32 v2, v0, v2
	v_mul_lo_u32 v3, v3, 24
	v_mul_hi_u32 v9, v2, 24
	v_mul_lo_u32 v10, v2, 24
	s_waitcnt vmcnt(1)
	v_mov_b32_e32 v2, v7
	v_add_u32_e32 v3, v9, v3
	s_waitcnt vmcnt(0)
	v_add_co_u32_e32 v4, vcc, v4, v10
	v_addc_co_u32_e32 v5, vcc, v5, v3, vcc
	global_store_dwordx2 v[4:5], v[7:8], off
	v_mov_b32_e32 v3, v8
	s_waitcnt vmcnt(0)
	global_atomic_cmpswap_x2 v[2:3], v6, v[0:3], s[6:7] offset:24 glc
	s_waitcnt vmcnt(0)
	v_cmp_ne_u64_e32 vcc, v[2:3], v[7:8]
	s_and_b64 exec, exec, vcc
	s_cbranch_execz .LBB3_162
.LBB3_161:                              ; =>This Inner Loop Header: Depth=1
	s_sleep 1
	global_store_dwordx2 v[4:5], v[2:3], off
	s_waitcnt vmcnt(0)
	global_atomic_cmpswap_x2 v[7:8], v6, v[0:3], s[6:7] offset:24 glc
	s_waitcnt vmcnt(0)
	v_cmp_eq_u64_e32 vcc, v[7:8], v[2:3]
	v_mov_b32_e32 v2, v7
	s_or_b64 s[4:5], vcc, s[4:5]
	v_mov_b32_e32 v3, v8
	s_andn2_b64 exec, exec, s[4:5]
	s_cbranch_execnz .LBB3_161
.LBB3_162:
	s_or_b64 exec, exec, s[10:11]
	s_waitcnt vmcnt(0) lgkmcnt(0)
	s_setpc_b64 s[30:31]
.Lfunc_end5:
	.size	_ZNK8migraphx13basic_printerIZNS_4coutEvEUlT_E_ElsEc, .Lfunc_end5-_ZNK8migraphx13basic_printerIZNS_4coutEvEUlT_E_ElsEc
                                        ; -- End function
	.section	.AMDGPU.csdata,"",@progbits
; Function info:
; codeLenInByte = 5780
; NumSgprs: 36
; NumVgprs: 36
; ScratchSize: 0
; MemoryBound: 0
	.text
	.p2align	2                               ; -- Begin function _ZL15sort_duplicatesRN8migraphx4test12test_managerE
	.type	_ZL15sort_duplicatesRN8migraphx4test12test_managerE,@function
_ZL15sort_duplicatesRN8migraphx4test12test_managerE: ; @_ZL15sort_duplicatesRN8migraphx4test12test_managerE
; %bb.0:
	s_waitcnt vmcnt(0) expcnt(0) lgkmcnt(0)
	s_mov_b32 s4, s33
	s_mov_b32 s33, s32
	s_or_saveexec_b64 s[6:7], -1
	buffer_store_dword v44, off, s[0:3], s33 offset:64 ; 4-byte Folded Spill
	s_mov_b64 exec, s[6:7]
	v_writelane_b32 v44, s4, 2
	v_writelane_b32 v44, s30, 0
	s_addk_i32 s32, 0x1400
	v_writelane_b32 v44, s31, 1
	v_mov_b32_e32 v43, v1
	v_mov_b32_e32 v42, v0
	;; [unrolled: 1-line block ×7, first 2 shown]
	s_mov_b64 s[6:7], -1
	v_mov_b32_e32 v5, 4
	buffer_store_dword v0, off, s[0:3], s33 offset:16
	buffer_store_dword v1, off, s[0:3], s33
	buffer_store_dword v1, off, s[0:3], s33 offset:4
	buffer_store_dword v2, off, s[0:3], s33 offset:12
	;; [unrolled: 1-line block ×4, first 2 shown]
	s_and_saveexec_b64 s[4:5], s[6:7]
	s_cbranch_execz .LBB6_2
; %bb.1:
	v_mov_b32_e32 v5, 5
	buffer_store_dword v4, off, s[0:3], s33 offset:16
	buffer_store_dword v0, off, s[0:3], s33 offset:20
.LBB6_2:
	s_or_b64 exec, exec, s[4:5]
	buffer_load_dword v6, off, s[0:3], s33 offset:12
	buffer_load_dword v7, off, s[0:3], s33 offset:16
	;; [unrolled: 1-line block ×4, first 2 shown]
	s_mov_b64 s[4:5], src_private_base
	buffer_store_dword v1, off, s[0:3], s33 offset:24
	buffer_store_dword v1, off, s[0:3], s33 offset:28
	;; [unrolled: 1-line block ×6, first 2 shown]
	v_lshrrev_b32_e64 v0, 6, s33
	v_lshrrev_b32_e64 v1, 6, s33
	v_mov_b32_e32 v2, s5
	v_add_u32_e32 v1, 24, v1
	buffer_store_dword v0, off, s[0:3], s33 offset:48
	buffer_store_dword v1, off, s[0:3], s33 offset:56
	;; [unrolled: 1-line block ×4, first 2 shown]
	v_cmp_ne_u32_e32 vcc, 5, v5
	s_waitcnt vmcnt(13)
	v_cmp_ne_u32_e64 s[4:5], 3, v6
	v_cndmask_b32_e64 v0, 0, 1, s[4:5]
	s_waitcnt vmcnt(12)
	v_cmp_ne_u32_e64 s[4:5], 4, v7
	v_cndmask_b32_e64 v1, 0, 1, s[4:5]
	;; [unrolled: 3-line block ×4, first 2 shown]
	v_lshlrev_b16_e32 v0, 2, v0
	v_lshlrev_b16_e32 v1, 3, v1
	;; [unrolled: 1-line block ×3, first 2 shown]
	v_or_b32_e32 v0, v1, v0
	v_or_b32_e32 v1, v3, v2
	v_and_b32_e32 v1, 3, v1
	v_or_b32_e32 v0, v1, v0
	v_and_b32_e32 v0, 15, v0
	v_cmp_ne_u16_e64 s[4:5], 0, v0
	s_or_b64 s[4:5], s[4:5], vcc
	s_and_saveexec_b64 s[6:7], s[4:5]
	s_xor_b64 s[44:45], exec, s[6:7]
	s_cbranch_execz .LBB6_1564
; %bb.3:
	v_and_b32_e32 v0, 0x3ff, v31
	v_cmp_eq_u32_e32 vcc, 0, v0
	s_and_saveexec_b64 s[46:47], vcc
	s_cbranch_execz .LBB6_1563
; %bb.4:
	s_load_dwordx2 s[6:7], s[8:9], 0x50
	v_mbcnt_lo_u32_b32 v0, -1, 0
	v_mbcnt_hi_u32_b32 v32, -1, v0
	v_readfirstlane_b32 s4, v32
	v_mov_b32_e32 v5, 0
	v_mov_b32_e32 v6, 0
	v_cmp_eq_u32_e64 s[4:5], s4, v32
	s_and_saveexec_b64 s[10:11], s[4:5]
	s_cbranch_execz .LBB6_10
; %bb.5:
	v_mov_b32_e32 v0, 0
	s_waitcnt lgkmcnt(0)
	global_load_dwordx2 v[3:4], v0, s[6:7] offset:24 glc
	s_waitcnt vmcnt(0)
	buffer_wbinvl1_vol
	global_load_dwordx2 v[1:2], v0, s[6:7] offset:40
	global_load_dwordx2 v[5:6], v0, s[6:7]
	s_waitcnt vmcnt(1)
	v_and_b32_e32 v1, v1, v3
	v_and_b32_e32 v2, v2, v4
	v_mul_lo_u32 v2, v2, 24
	v_mul_hi_u32 v7, v1, 24
	v_mul_lo_u32 v1, v1, 24
	v_add_u32_e32 v2, v7, v2
	s_waitcnt vmcnt(0)
	v_add_co_u32_e32 v1, vcc, v5, v1
	v_addc_co_u32_e32 v2, vcc, v6, v2, vcc
	global_load_dwordx2 v[1:2], v[1:2], off glc
	s_waitcnt vmcnt(0)
	global_atomic_cmpswap_x2 v[5:6], v0, v[1:4], s[6:7] offset:24 glc
	s_waitcnt vmcnt(0)
	buffer_wbinvl1_vol
	v_cmp_ne_u64_e32 vcc, v[5:6], v[3:4]
	s_and_saveexec_b64 s[16:17], vcc
	s_cbranch_execz .LBB6_9
; %bb.6:
	s_mov_b64 s[18:19], 0
.LBB6_7:                                ; =>This Inner Loop Header: Depth=1
	s_sleep 1
	global_load_dwordx2 v[1:2], v0, s[6:7] offset:40
	global_load_dwordx2 v[7:8], v0, s[6:7]
	v_mov_b32_e32 v3, v5
	v_mov_b32_e32 v4, v6
	s_waitcnt vmcnt(1)
	v_and_b32_e32 v1, v1, v3
	s_waitcnt vmcnt(0)
	v_mad_u64_u32 v[5:6], s[20:21], v1, 24, v[7:8]
	v_and_b32_e32 v2, v2, v4
	v_mov_b32_e32 v1, v6
	v_mad_u64_u32 v[1:2], s[20:21], v2, 24, v[1:2]
	v_mov_b32_e32 v6, v1
	global_load_dwordx2 v[1:2], v[5:6], off glc
	s_waitcnt vmcnt(0)
	global_atomic_cmpswap_x2 v[5:6], v0, v[1:4], s[6:7] offset:24 glc
	s_waitcnt vmcnt(0)
	buffer_wbinvl1_vol
	v_cmp_eq_u64_e32 vcc, v[5:6], v[3:4]
	s_or_b64 s[18:19], vcc, s[18:19]
	s_andn2_b64 exec, exec, s[18:19]
	s_cbranch_execnz .LBB6_7
; %bb.8:
	s_or_b64 exec, exec, s[18:19]
.LBB6_9:
	s_or_b64 exec, exec, s[16:17]
.LBB6_10:
	s_or_b64 exec, exec, s[10:11]
	v_mov_b32_e32 v4, 0
	s_waitcnt lgkmcnt(0)
	global_load_dwordx2 v[7:8], v4, s[6:7] offset:40
	global_load_dwordx4 v[0:3], v4, s[6:7]
	v_readfirstlane_b32 s10, v5
	v_readfirstlane_b32 s11, v6
	s_mov_b64 s[16:17], exec
	s_waitcnt vmcnt(1)
	v_readfirstlane_b32 s18, v7
	v_readfirstlane_b32 s19, v8
	s_and_b64 s[18:19], s[10:11], s[18:19]
	s_mul_i32 s15, s19, 24
	s_mul_hi_u32 s20, s18, 24
	s_mul_i32 s21, s18, 24
	s_add_i32 s15, s20, s15
	v_mov_b32_e32 v5, s15
	s_waitcnt vmcnt(0)
	v_add_co_u32_e32 v7, vcc, s21, v0
	v_addc_co_u32_e32 v8, vcc, v1, v5, vcc
	s_and_saveexec_b64 s[20:21], s[4:5]
	s_cbranch_execz .LBB6_12
; %bb.11:
	v_mov_b32_e32 v9, s16
	v_mov_b32_e32 v10, s17
	;; [unrolled: 1-line block ×4, first 2 shown]
	global_store_dwordx4 v[7:8], v[9:12], off offset:8
.LBB6_12:
	s_or_b64 exec, exec, s[20:21]
	s_lshl_b64 s[16:17], s[18:19], 12
	v_mov_b32_e32 v5, s17
	v_add_co_u32_e32 v2, vcc, s16, v2
	v_addc_co_u32_e32 v11, vcc, v3, v5, vcc
	s_mov_b32 s16, 0
	v_lshlrev_b32_e32 v31, 6, v32
	v_mov_b32_e32 v3, 33
	v_mov_b32_e32 v5, v4
	;; [unrolled: 1-line block ×3, first 2 shown]
	v_readfirstlane_b32 s20, v2
	v_readfirstlane_b32 s21, v11
	v_add_co_u32_e32 v9, vcc, v2, v31
	s_mov_b32 s17, s16
	s_mov_b32 s18, s16
	;; [unrolled: 1-line block ×3, first 2 shown]
	s_nop 0
	global_store_dwordx4 v31, v[3:6], s[20:21]
	v_mov_b32_e32 v2, s16
	v_addc_co_u32_e32 v10, vcc, 0, v11, vcc
	v_mov_b32_e32 v3, s17
	v_mov_b32_e32 v4, s18
	;; [unrolled: 1-line block ×3, first 2 shown]
	global_store_dwordx4 v31, v[2:5], s[20:21] offset:16
	global_store_dwordx4 v31, v[2:5], s[20:21] offset:32
	;; [unrolled: 1-line block ×3, first 2 shown]
	s_and_saveexec_b64 s[16:17], s[4:5]
	s_cbranch_execz .LBB6_20
; %bb.13:
	v_mov_b32_e32 v6, 0
	global_load_dwordx2 v[13:14], v6, s[6:7] offset:32 glc
	global_load_dwordx2 v[2:3], v6, s[6:7] offset:40
	v_mov_b32_e32 v11, s10
	v_mov_b32_e32 v12, s11
	s_waitcnt vmcnt(0)
	v_and_b32_e32 v2, s10, v2
	v_and_b32_e32 v3, s11, v3
	v_mul_lo_u32 v3, v3, 24
	v_mul_hi_u32 v4, v2, 24
	v_mul_lo_u32 v2, v2, 24
	v_add_u32_e32 v3, v4, v3
	v_add_co_u32_e32 v4, vcc, v0, v2
	v_addc_co_u32_e32 v5, vcc, v1, v3, vcc
	global_store_dwordx2 v[4:5], v[13:14], off
	s_waitcnt vmcnt(0)
	global_atomic_cmpswap_x2 v[2:3], v6, v[11:14], s[6:7] offset:32 glc
	s_waitcnt vmcnt(0)
	v_cmp_ne_u64_e32 vcc, v[2:3], v[13:14]
	s_and_saveexec_b64 s[18:19], vcc
	s_cbranch_execz .LBB6_16
; %bb.14:
	s_mov_b64 s[20:21], 0
.LBB6_15:                               ; =>This Inner Loop Header: Depth=1
	s_sleep 1
	global_store_dwordx2 v[4:5], v[2:3], off
	v_mov_b32_e32 v0, s10
	v_mov_b32_e32 v1, s11
	s_waitcnt vmcnt(0)
	global_atomic_cmpswap_x2 v[0:1], v6, v[0:3], s[6:7] offset:32 glc
	s_waitcnt vmcnt(0)
	v_cmp_eq_u64_e32 vcc, v[0:1], v[2:3]
	v_mov_b32_e32 v3, v1
	s_or_b64 s[20:21], vcc, s[20:21]
	v_mov_b32_e32 v2, v0
	s_andn2_b64 exec, exec, s[20:21]
	s_cbranch_execnz .LBB6_15
.LBB6_16:
	s_or_b64 exec, exec, s[18:19]
	v_mov_b32_e32 v3, 0
	global_load_dwordx2 v[0:1], v3, s[6:7] offset:16
	s_mov_b64 s[18:19], exec
	v_mbcnt_lo_u32_b32 v2, s18, 0
	v_mbcnt_hi_u32_b32 v2, s19, v2
	v_cmp_eq_u32_e32 vcc, 0, v2
	s_and_saveexec_b64 s[20:21], vcc
	s_cbranch_execz .LBB6_18
; %bb.17:
	s_bcnt1_i32_b64 s15, s[18:19]
	v_mov_b32_e32 v2, s15
	s_waitcnt vmcnt(0)
	global_atomic_add_x2 v[0:1], v[2:3], off offset:8
.LBB6_18:
	s_or_b64 exec, exec, s[20:21]
	s_waitcnt vmcnt(0)
	global_load_dwordx2 v[2:3], v[0:1], off offset:16
	s_waitcnt vmcnt(0)
	v_cmp_eq_u64_e32 vcc, 0, v[2:3]
	s_cbranch_vccnz .LBB6_20
; %bb.19:
	global_load_dword v0, v[0:1], off offset:24
	v_mov_b32_e32 v1, 0
	s_waitcnt vmcnt(0)
	global_store_dwordx2 v[2:3], v[0:1], off
	v_and_b32_e32 v0, 0xffffff, v0
	v_readfirstlane_b32 m0, v0
	s_sendmsg sendmsg(MSG_INTERRUPT)
.LBB6_20:
	s_or_b64 exec, exec, s[16:17]
	s_branch .LBB6_24
.LBB6_21:                               ;   in Loop: Header=BB6_24 Depth=1
	s_or_b64 exec, exec, s[16:17]
	v_readfirstlane_b32 s15, v0
	s_cmp_eq_u32 s15, 0
	s_cbranch_scc1 .LBB6_23
; %bb.22:                               ;   in Loop: Header=BB6_24 Depth=1
	s_sleep 1
	s_cbranch_execnz .LBB6_24
	s_branch .LBB6_26
.LBB6_23:
	s_branch .LBB6_26
.LBB6_24:                               ; =>This Inner Loop Header: Depth=1
	v_mov_b32_e32 v0, 1
	s_and_saveexec_b64 s[16:17], s[4:5]
	s_cbranch_execz .LBB6_21
; %bb.25:                               ;   in Loop: Header=BB6_24 Depth=1
	global_load_dword v0, v[7:8], off offset:20 glc
	s_waitcnt vmcnt(0)
	buffer_wbinvl1_vol
	v_and_b32_e32 v0, 1, v0
	s_branch .LBB6_21
.LBB6_26:
	global_load_dwordx2 v[4:5], v[9:10], off
	s_and_saveexec_b64 s[16:17], s[4:5]
	s_cbranch_execz .LBB6_29
; %bb.27:
	v_mov_b32_e32 v8, 0
	global_load_dwordx2 v[2:3], v8, s[6:7] offset:40
	global_load_dwordx2 v[9:10], v8, s[6:7] offset:24 glc
	global_load_dwordx2 v[6:7], v8, s[6:7]
	v_mov_b32_e32 v1, s11
	s_mov_b64 s[4:5], 0
	s_waitcnt vmcnt(2)
	v_add_co_u32_e32 v11, vcc, 1, v2
	v_addc_co_u32_e32 v12, vcc, 0, v3, vcc
	v_add_co_u32_e32 v0, vcc, s10, v11
	v_addc_co_u32_e32 v1, vcc, v12, v1, vcc
	v_cmp_eq_u64_e32 vcc, 0, v[0:1]
	v_cndmask_b32_e32 v1, v1, v12, vcc
	v_cndmask_b32_e32 v0, v0, v11, vcc
	v_and_b32_e32 v3, v1, v3
	v_and_b32_e32 v2, v0, v2
	v_mul_lo_u32 v3, v3, 24
	v_mul_hi_u32 v11, v2, 24
	v_mul_lo_u32 v12, v2, 24
	s_waitcnt vmcnt(1)
	v_mov_b32_e32 v2, v9
	v_add_u32_e32 v3, v11, v3
	s_waitcnt vmcnt(0)
	v_add_co_u32_e32 v6, vcc, v6, v12
	v_addc_co_u32_e32 v7, vcc, v7, v3, vcc
	global_store_dwordx2 v[6:7], v[9:10], off
	v_mov_b32_e32 v3, v10
	s_waitcnt vmcnt(0)
	global_atomic_cmpswap_x2 v[2:3], v8, v[0:3], s[6:7] offset:24 glc
	s_waitcnt vmcnt(0)
	v_cmp_ne_u64_e32 vcc, v[2:3], v[9:10]
	s_and_b64 exec, exec, vcc
	s_cbranch_execz .LBB6_29
.LBB6_28:                               ; =>This Inner Loop Header: Depth=1
	s_sleep 1
	global_store_dwordx2 v[6:7], v[2:3], off
	s_waitcnt vmcnt(0)
	global_atomic_cmpswap_x2 v[9:10], v8, v[0:3], s[6:7] offset:24 glc
	s_waitcnt vmcnt(0)
	v_cmp_eq_u64_e32 vcc, v[9:10], v[2:3]
	v_mov_b32_e32 v2, v9
	s_or_b64 s[4:5], vcc, s[4:5]
	v_mov_b32_e32 v3, v10
	s_andn2_b64 exec, exec, s[4:5]
	s_cbranch_execnz .LBB6_28
.LBB6_29:
	s_or_b64 exec, exec, s[16:17]
	s_getpc_b64 s[16:17]
	s_add_u32 s16, s16, .str.5@rel32@lo+4
	s_addc_u32 s17, s17, .str.5@rel32@hi+12
	s_cmp_lg_u64 s[16:17], 0
	s_cselect_b64 s[10:11], -1, 0
	s_and_b64 vcc, exec, s[10:11]
	s_cbranch_vccz .LBB6_114
; %bb.30:
	s_waitcnt vmcnt(0)
	v_and_b32_e32 v29, 2, v4
	v_mov_b32_e32 v26, 0
	v_and_b32_e32 v0, -3, v4
	v_mov_b32_e32 v1, v5
	s_mov_b64 s[18:19], 3
	v_mov_b32_e32 v8, 2
	v_mov_b32_e32 v9, 1
	s_branch .LBB6_32
.LBB6_31:                               ;   in Loop: Header=BB6_32 Depth=1
	s_or_b64 exec, exec, s[24:25]
	s_sub_u32 s18, s18, s20
	s_subb_u32 s19, s19, s21
	s_add_u32 s16, s16, s20
	s_addc_u32 s17, s17, s21
	s_cmp_lg_u64 s[18:19], 0
	s_cbranch_scc0 .LBB6_113
.LBB6_32:                               ; =>This Loop Header: Depth=1
                                        ;     Child Loop BB6_35 Depth 2
                                        ;     Child Loop BB6_42 Depth 2
	;; [unrolled: 1-line block ×11, first 2 shown]
	v_cmp_lt_u64_e64 s[4:5], s[18:19], 56
	v_cmp_gt_u64_e64 s[22:23], s[18:19], 7
	s_and_b64 s[4:5], s[4:5], exec
	s_cselect_b32 s21, s19, 0
	s_cselect_b32 s20, s18, 56
	s_and_b64 vcc, exec, s[22:23]
	s_cbranch_vccnz .LBB6_37
; %bb.33:                               ;   in Loop: Header=BB6_32 Depth=1
	s_waitcnt vmcnt(0)
	v_mov_b32_e32 v2, 0
	s_cmp_eq_u64 s[18:19], 0
	v_mov_b32_e32 v3, 0
	s_mov_b64 s[4:5], 0
	s_cbranch_scc1 .LBB6_36
; %bb.34:                               ;   in Loop: Header=BB6_32 Depth=1
	v_mov_b32_e32 v2, 0
	s_lshl_b64 s[22:23], s[20:21], 3
	s_mov_b64 s[24:25], 0
	v_mov_b32_e32 v3, 0
	s_mov_b64 s[26:27], s[16:17]
.LBB6_35:                               ;   Parent Loop BB6_32 Depth=1
                                        ; =>  This Inner Loop Header: Depth=2
	global_load_ubyte v6, v26, s[26:27]
	s_waitcnt vmcnt(0)
	v_and_b32_e32 v25, 0xffff, v6
	v_lshlrev_b64 v[6:7], s24, v[25:26]
	s_add_u32 s24, s24, 8
	s_addc_u32 s25, s25, 0
	s_add_u32 s26, s26, 1
	s_addc_u32 s27, s27, 0
	v_or_b32_e32 v2, v6, v2
	s_cmp_lg_u32 s22, s24
	v_or_b32_e32 v3, v7, v3
	s_cbranch_scc1 .LBB6_35
.LBB6_36:                               ;   in Loop: Header=BB6_32 Depth=1
	s_mov_b32 s15, 0
	s_andn2_b64 vcc, exec, s[4:5]
	s_mov_b64 s[4:5], s[16:17]
	s_cbranch_vccz .LBB6_38
	s_branch .LBB6_39
.LBB6_37:                               ;   in Loop: Header=BB6_32 Depth=1
                                        ; implicit-def: $vgpr2_vgpr3
                                        ; implicit-def: $sgpr15
	s_mov_b64 s[4:5], s[16:17]
.LBB6_38:                               ;   in Loop: Header=BB6_32 Depth=1
	global_load_dwordx2 v[2:3], v26, s[16:17]
	s_add_i32 s15, s20, -8
	s_add_u32 s4, s16, 8
	s_addc_u32 s5, s17, 0
.LBB6_39:                               ;   in Loop: Header=BB6_32 Depth=1
	s_cmp_gt_u32 s15, 7
	s_cbranch_scc1 .LBB6_43
; %bb.40:                               ;   in Loop: Header=BB6_32 Depth=1
	s_cmp_eq_u32 s15, 0
	s_cbranch_scc1 .LBB6_44
; %bb.41:                               ;   in Loop: Header=BB6_32 Depth=1
	v_mov_b32_e32 v10, 0
	s_mov_b64 s[22:23], 0
	v_mov_b32_e32 v11, 0
	s_mov_b64 s[24:25], 0
.LBB6_42:                               ;   Parent Loop BB6_32 Depth=1
                                        ; =>  This Inner Loop Header: Depth=2
	s_add_u32 s26, s4, s24
	s_addc_u32 s27, s5, s25
	global_load_ubyte v6, v26, s[26:27]
	s_add_u32 s24, s24, 1
	s_addc_u32 s25, s25, 0
	s_waitcnt vmcnt(0)
	v_and_b32_e32 v25, 0xffff, v6
	v_lshlrev_b64 v[6:7], s22, v[25:26]
	s_add_u32 s22, s22, 8
	s_addc_u32 s23, s23, 0
	v_or_b32_e32 v10, v6, v10
	s_cmp_lg_u32 s15, s24
	v_or_b32_e32 v11, v7, v11
	s_cbranch_scc1 .LBB6_42
	s_branch .LBB6_45
.LBB6_43:                               ;   in Loop: Header=BB6_32 Depth=1
                                        ; implicit-def: $vgpr10_vgpr11
                                        ; implicit-def: $sgpr26
	s_branch .LBB6_46
.LBB6_44:                               ;   in Loop: Header=BB6_32 Depth=1
	v_mov_b32_e32 v10, 0
	v_mov_b32_e32 v11, 0
.LBB6_45:                               ;   in Loop: Header=BB6_32 Depth=1
	s_mov_b32 s26, 0
	s_cbranch_execnz .LBB6_47
.LBB6_46:                               ;   in Loop: Header=BB6_32 Depth=1
	global_load_dwordx2 v[10:11], v26, s[4:5]
	s_add_i32 s26, s15, -8
	s_add_u32 s4, s4, 8
	s_addc_u32 s5, s5, 0
.LBB6_47:                               ;   in Loop: Header=BB6_32 Depth=1
	s_cmp_gt_u32 s26, 7
	s_cbranch_scc1 .LBB6_51
; %bb.48:                               ;   in Loop: Header=BB6_32 Depth=1
	s_cmp_eq_u32 s26, 0
	s_cbranch_scc1 .LBB6_52
; %bb.49:                               ;   in Loop: Header=BB6_32 Depth=1
	v_mov_b32_e32 v12, 0
	s_mov_b64 s[22:23], 0
	v_mov_b32_e32 v13, 0
	s_mov_b64 s[24:25], 0
.LBB6_50:                               ;   Parent Loop BB6_32 Depth=1
                                        ; =>  This Inner Loop Header: Depth=2
	s_add_u32 s28, s4, s24
	s_addc_u32 s29, s5, s25
	global_load_ubyte v6, v26, s[28:29]
	s_add_u32 s24, s24, 1
	s_addc_u32 s25, s25, 0
	s_waitcnt vmcnt(0)
	v_and_b32_e32 v25, 0xffff, v6
	v_lshlrev_b64 v[6:7], s22, v[25:26]
	s_add_u32 s22, s22, 8
	s_addc_u32 s23, s23, 0
	v_or_b32_e32 v12, v6, v12
	s_cmp_lg_u32 s26, s24
	v_or_b32_e32 v13, v7, v13
	s_cbranch_scc1 .LBB6_50
	s_branch .LBB6_53
.LBB6_51:                               ;   in Loop: Header=BB6_32 Depth=1
                                        ; implicit-def: $sgpr15
	s_branch .LBB6_54
.LBB6_52:                               ;   in Loop: Header=BB6_32 Depth=1
	v_mov_b32_e32 v12, 0
	v_mov_b32_e32 v13, 0
.LBB6_53:                               ;   in Loop: Header=BB6_32 Depth=1
	s_mov_b32 s15, 0
	s_cbranch_execnz .LBB6_55
.LBB6_54:                               ;   in Loop: Header=BB6_32 Depth=1
	global_load_dwordx2 v[12:13], v26, s[4:5]
	s_add_i32 s15, s26, -8
	s_add_u32 s4, s4, 8
	s_addc_u32 s5, s5, 0
.LBB6_55:                               ;   in Loop: Header=BB6_32 Depth=1
	s_cmp_gt_u32 s15, 7
	s_cbranch_scc1 .LBB6_59
; %bb.56:                               ;   in Loop: Header=BB6_32 Depth=1
	s_cmp_eq_u32 s15, 0
	s_cbranch_scc1 .LBB6_60
; %bb.57:                               ;   in Loop: Header=BB6_32 Depth=1
	v_mov_b32_e32 v14, 0
	s_mov_b64 s[22:23], 0
	v_mov_b32_e32 v15, 0
	s_mov_b64 s[24:25], 0
.LBB6_58:                               ;   Parent Loop BB6_32 Depth=1
                                        ; =>  This Inner Loop Header: Depth=2
	s_add_u32 s26, s4, s24
	s_addc_u32 s27, s5, s25
	global_load_ubyte v6, v26, s[26:27]
	s_add_u32 s24, s24, 1
	s_addc_u32 s25, s25, 0
	s_waitcnt vmcnt(0)
	v_and_b32_e32 v25, 0xffff, v6
	v_lshlrev_b64 v[6:7], s22, v[25:26]
	s_add_u32 s22, s22, 8
	s_addc_u32 s23, s23, 0
	v_or_b32_e32 v14, v6, v14
	s_cmp_lg_u32 s15, s24
	v_or_b32_e32 v15, v7, v15
	s_cbranch_scc1 .LBB6_58
	s_branch .LBB6_61
.LBB6_59:                               ;   in Loop: Header=BB6_32 Depth=1
                                        ; implicit-def: $vgpr14_vgpr15
                                        ; implicit-def: $sgpr26
	s_branch .LBB6_62
.LBB6_60:                               ;   in Loop: Header=BB6_32 Depth=1
	v_mov_b32_e32 v14, 0
	v_mov_b32_e32 v15, 0
.LBB6_61:                               ;   in Loop: Header=BB6_32 Depth=1
	s_mov_b32 s26, 0
	s_cbranch_execnz .LBB6_63
.LBB6_62:                               ;   in Loop: Header=BB6_32 Depth=1
	global_load_dwordx2 v[14:15], v26, s[4:5]
	s_add_i32 s26, s15, -8
	s_add_u32 s4, s4, 8
	s_addc_u32 s5, s5, 0
.LBB6_63:                               ;   in Loop: Header=BB6_32 Depth=1
	s_cmp_gt_u32 s26, 7
	s_cbranch_scc1 .LBB6_67
; %bb.64:                               ;   in Loop: Header=BB6_32 Depth=1
	s_cmp_eq_u32 s26, 0
	s_cbranch_scc1 .LBB6_68
; %bb.65:                               ;   in Loop: Header=BB6_32 Depth=1
	v_mov_b32_e32 v16, 0
	s_mov_b64 s[22:23], 0
	v_mov_b32_e32 v17, 0
	s_mov_b64 s[24:25], 0
.LBB6_66:                               ;   Parent Loop BB6_32 Depth=1
                                        ; =>  This Inner Loop Header: Depth=2
	s_add_u32 s28, s4, s24
	s_addc_u32 s29, s5, s25
	global_load_ubyte v6, v26, s[28:29]
	s_add_u32 s24, s24, 1
	s_addc_u32 s25, s25, 0
	s_waitcnt vmcnt(0)
	v_and_b32_e32 v25, 0xffff, v6
	v_lshlrev_b64 v[6:7], s22, v[25:26]
	s_add_u32 s22, s22, 8
	s_addc_u32 s23, s23, 0
	v_or_b32_e32 v16, v6, v16
	s_cmp_lg_u32 s26, s24
	v_or_b32_e32 v17, v7, v17
	s_cbranch_scc1 .LBB6_66
	s_branch .LBB6_69
.LBB6_67:                               ;   in Loop: Header=BB6_32 Depth=1
                                        ; implicit-def: $sgpr15
	s_branch .LBB6_70
.LBB6_68:                               ;   in Loop: Header=BB6_32 Depth=1
	v_mov_b32_e32 v16, 0
	v_mov_b32_e32 v17, 0
.LBB6_69:                               ;   in Loop: Header=BB6_32 Depth=1
	s_mov_b32 s15, 0
	s_cbranch_execnz .LBB6_71
.LBB6_70:                               ;   in Loop: Header=BB6_32 Depth=1
	global_load_dwordx2 v[16:17], v26, s[4:5]
	s_add_i32 s15, s26, -8
	s_add_u32 s4, s4, 8
	s_addc_u32 s5, s5, 0
.LBB6_71:                               ;   in Loop: Header=BB6_32 Depth=1
	s_cmp_gt_u32 s15, 7
	s_cbranch_scc1 .LBB6_75
; %bb.72:                               ;   in Loop: Header=BB6_32 Depth=1
	s_cmp_eq_u32 s15, 0
	s_cbranch_scc1 .LBB6_76
; %bb.73:                               ;   in Loop: Header=BB6_32 Depth=1
	v_mov_b32_e32 v18, 0
	s_mov_b64 s[22:23], 0
	v_mov_b32_e32 v19, 0
	s_mov_b64 s[24:25], 0
.LBB6_74:                               ;   Parent Loop BB6_32 Depth=1
                                        ; =>  This Inner Loop Header: Depth=2
	s_add_u32 s26, s4, s24
	s_addc_u32 s27, s5, s25
	global_load_ubyte v6, v26, s[26:27]
	s_add_u32 s24, s24, 1
	s_addc_u32 s25, s25, 0
	s_waitcnt vmcnt(0)
	v_and_b32_e32 v25, 0xffff, v6
	v_lshlrev_b64 v[6:7], s22, v[25:26]
	s_add_u32 s22, s22, 8
	s_addc_u32 s23, s23, 0
	v_or_b32_e32 v18, v6, v18
	s_cmp_lg_u32 s15, s24
	v_or_b32_e32 v19, v7, v19
	s_cbranch_scc1 .LBB6_74
	s_branch .LBB6_77
.LBB6_75:                               ;   in Loop: Header=BB6_32 Depth=1
                                        ; implicit-def: $vgpr18_vgpr19
                                        ; implicit-def: $sgpr26
	s_branch .LBB6_78
.LBB6_76:                               ;   in Loop: Header=BB6_32 Depth=1
	v_mov_b32_e32 v18, 0
	v_mov_b32_e32 v19, 0
.LBB6_77:                               ;   in Loop: Header=BB6_32 Depth=1
	s_mov_b32 s26, 0
	s_cbranch_execnz .LBB6_79
.LBB6_78:                               ;   in Loop: Header=BB6_32 Depth=1
	global_load_dwordx2 v[18:19], v26, s[4:5]
	s_add_i32 s26, s15, -8
	s_add_u32 s4, s4, 8
	s_addc_u32 s5, s5, 0
.LBB6_79:                               ;   in Loop: Header=BB6_32 Depth=1
	s_cmp_gt_u32 s26, 7
	s_cbranch_scc1 .LBB6_83
; %bb.80:                               ;   in Loop: Header=BB6_32 Depth=1
	s_cmp_eq_u32 s26, 0
	s_cbranch_scc1 .LBB6_84
; %bb.81:                               ;   in Loop: Header=BB6_32 Depth=1
	v_mov_b32_e32 v20, 0
	s_mov_b64 s[22:23], 0
	v_mov_b32_e32 v21, 0
	s_mov_b64 s[24:25], s[4:5]
.LBB6_82:                               ;   Parent Loop BB6_32 Depth=1
                                        ; =>  This Inner Loop Header: Depth=2
	global_load_ubyte v6, v26, s[24:25]
	s_add_i32 s26, s26, -1
	s_waitcnt vmcnt(0)
	v_and_b32_e32 v25, 0xffff, v6
	v_lshlrev_b64 v[6:7], s22, v[25:26]
	s_add_u32 s22, s22, 8
	s_addc_u32 s23, s23, 0
	s_add_u32 s24, s24, 1
	s_addc_u32 s25, s25, 0
	v_or_b32_e32 v20, v6, v20
	s_cmp_lg_u32 s26, 0
	v_or_b32_e32 v21, v7, v21
	s_cbranch_scc1 .LBB6_82
	s_branch .LBB6_85
.LBB6_83:                               ;   in Loop: Header=BB6_32 Depth=1
	s_branch .LBB6_86
.LBB6_84:                               ;   in Loop: Header=BB6_32 Depth=1
	v_mov_b32_e32 v20, 0
	v_mov_b32_e32 v21, 0
.LBB6_85:                               ;   in Loop: Header=BB6_32 Depth=1
	s_cbranch_execnz .LBB6_87
.LBB6_86:                               ;   in Loop: Header=BB6_32 Depth=1
	global_load_dwordx2 v[20:21], v26, s[4:5]
.LBB6_87:                               ;   in Loop: Header=BB6_32 Depth=1
	v_readfirstlane_b32 s4, v32
	v_mov_b32_e32 v6, 0
	v_mov_b32_e32 v7, 0
	v_cmp_eq_u32_e64 s[4:5], s4, v32
	s_and_saveexec_b64 s[22:23], s[4:5]
	s_cbranch_execz .LBB6_93
; %bb.88:                               ;   in Loop: Header=BB6_32 Depth=1
	global_load_dwordx2 v[24:25], v26, s[6:7] offset:24 glc
	s_waitcnt vmcnt(0)
	buffer_wbinvl1_vol
	global_load_dwordx2 v[6:7], v26, s[6:7] offset:40
	global_load_dwordx2 v[22:23], v26, s[6:7]
	s_waitcnt vmcnt(1)
	v_and_b32_e32 v6, v6, v24
	v_and_b32_e32 v7, v7, v25
	v_mul_lo_u32 v7, v7, 24
	v_mul_hi_u32 v27, v6, 24
	v_mul_lo_u32 v6, v6, 24
	v_add_u32_e32 v7, v27, v7
	s_waitcnt vmcnt(0)
	v_add_co_u32_e32 v6, vcc, v22, v6
	v_addc_co_u32_e32 v7, vcc, v23, v7, vcc
	global_load_dwordx2 v[22:23], v[6:7], off glc
	s_waitcnt vmcnt(0)
	global_atomic_cmpswap_x2 v[6:7], v26, v[22:25], s[6:7] offset:24 glc
	s_waitcnt vmcnt(0)
	buffer_wbinvl1_vol
	v_cmp_ne_u64_e32 vcc, v[6:7], v[24:25]
	s_and_saveexec_b64 s[24:25], vcc
	s_cbranch_execz .LBB6_92
; %bb.89:                               ;   in Loop: Header=BB6_32 Depth=1
	s_mov_b64 s[26:27], 0
.LBB6_90:                               ;   Parent Loop BB6_32 Depth=1
                                        ; =>  This Inner Loop Header: Depth=2
	s_sleep 1
	global_load_dwordx2 v[22:23], v26, s[6:7] offset:40
	global_load_dwordx2 v[27:28], v26, s[6:7]
	v_mov_b32_e32 v25, v7
	v_mov_b32_e32 v24, v6
	s_waitcnt vmcnt(1)
	v_and_b32_e32 v6, v22, v24
	s_waitcnt vmcnt(0)
	v_mad_u64_u32 v[6:7], s[28:29], v6, 24, v[27:28]
	v_and_b32_e32 v22, v23, v25
	v_mad_u64_u32 v[22:23], s[28:29], v22, 24, v[7:8]
	v_mov_b32_e32 v7, v22
	global_load_dwordx2 v[22:23], v[6:7], off glc
	s_waitcnt vmcnt(0)
	global_atomic_cmpswap_x2 v[6:7], v26, v[22:25], s[6:7] offset:24 glc
	s_waitcnt vmcnt(0)
	buffer_wbinvl1_vol
	v_cmp_eq_u64_e32 vcc, v[6:7], v[24:25]
	s_or_b64 s[26:27], vcc, s[26:27]
	s_andn2_b64 exec, exec, s[26:27]
	s_cbranch_execnz .LBB6_90
; %bb.91:                               ;   in Loop: Header=BB6_32 Depth=1
	s_or_b64 exec, exec, s[26:27]
.LBB6_92:                               ;   in Loop: Header=BB6_32 Depth=1
	s_or_b64 exec, exec, s[24:25]
.LBB6_93:                               ;   in Loop: Header=BB6_32 Depth=1
	s_or_b64 exec, exec, s[22:23]
	global_load_dwordx2 v[27:28], v26, s[6:7] offset:40
	global_load_dwordx4 v[22:25], v26, s[6:7]
	v_readfirstlane_b32 s22, v6
	v_readfirstlane_b32 s23, v7
	s_mov_b64 s[24:25], exec
	s_waitcnt vmcnt(1)
	v_readfirstlane_b32 s26, v27
	v_readfirstlane_b32 s27, v28
	s_and_b64 s[26:27], s[22:23], s[26:27]
	s_mul_i32 s15, s27, 24
	s_mul_hi_u32 s28, s26, 24
	s_mul_i32 s29, s26, 24
	s_add_i32 s15, s28, s15
	v_mov_b32_e32 v6, s15
	s_waitcnt vmcnt(0)
	v_add_co_u32_e32 v27, vcc, s29, v22
	v_addc_co_u32_e32 v28, vcc, v23, v6, vcc
	s_and_saveexec_b64 s[28:29], s[4:5]
	s_cbranch_execz .LBB6_95
; %bb.94:                               ;   in Loop: Header=BB6_32 Depth=1
	v_mov_b32_e32 v6, s24
	v_mov_b32_e32 v7, s25
	global_store_dwordx4 v[27:28], v[6:9], off offset:8
.LBB6_95:                               ;   in Loop: Header=BB6_32 Depth=1
	s_or_b64 exec, exec, s[28:29]
	s_lshl_b64 s[24:25], s[26:27], 12
	v_mov_b32_e32 v6, s25
	v_add_co_u32_e32 v24, vcc, s24, v24
	v_addc_co_u32_e32 v30, vcc, v25, v6, vcc
	v_cmp_gt_u64_e64 vcc, s[18:19], 56
	v_or_b32_e32 v7, v0, v29
	s_lshl_b32 s15, s20, 2
	v_cndmask_b32_e32 v0, v7, v0, vcc
	s_add_i32 s15, s15, 28
	v_or_b32_e32 v6, 0, v1
	s_and_b32 s15, s15, 0x1e0
	v_and_b32_e32 v0, 0xffffff1f, v0
	v_cndmask_b32_e32 v1, v6, v1, vcc
	v_or_b32_e32 v0, s15, v0
	v_readfirstlane_b32 s24, v24
	v_readfirstlane_b32 s25, v30
	s_nop 4
	global_store_dwordx4 v31, v[0:3], s[24:25]
	global_store_dwordx4 v31, v[10:13], s[24:25] offset:16
	global_store_dwordx4 v31, v[14:17], s[24:25] offset:32
	;; [unrolled: 1-line block ×3, first 2 shown]
	s_and_saveexec_b64 s[24:25], s[4:5]
	s_cbranch_execz .LBB6_103
; %bb.96:                               ;   in Loop: Header=BB6_32 Depth=1
	global_load_dwordx2 v[12:13], v26, s[6:7] offset:32 glc
	global_load_dwordx2 v[0:1], v26, s[6:7] offset:40
	v_mov_b32_e32 v10, s22
	v_mov_b32_e32 v11, s23
	s_waitcnt vmcnt(0)
	v_readfirstlane_b32 s26, v0
	v_readfirstlane_b32 s27, v1
	s_and_b64 s[26:27], s[26:27], s[22:23]
	s_mul_i32 s15, s27, 24
	s_mul_hi_u32 s27, s26, 24
	s_mul_i32 s26, s26, 24
	s_add_i32 s15, s27, s15
	v_mov_b32_e32 v0, s15
	v_add_co_u32_e32 v6, vcc, s26, v22
	v_addc_co_u32_e32 v7, vcc, v23, v0, vcc
	global_store_dwordx2 v[6:7], v[12:13], off
	s_waitcnt vmcnt(0)
	global_atomic_cmpswap_x2 v[2:3], v26, v[10:13], s[6:7] offset:32 glc
	s_waitcnt vmcnt(0)
	v_cmp_ne_u64_e32 vcc, v[2:3], v[12:13]
	s_and_saveexec_b64 s[26:27], vcc
	s_cbranch_execz .LBB6_99
; %bb.97:                               ;   in Loop: Header=BB6_32 Depth=1
	s_mov_b64 s[28:29], 0
.LBB6_98:                               ;   Parent Loop BB6_32 Depth=1
                                        ; =>  This Inner Loop Header: Depth=2
	s_sleep 1
	global_store_dwordx2 v[6:7], v[2:3], off
	v_mov_b32_e32 v0, s22
	v_mov_b32_e32 v1, s23
	s_waitcnt vmcnt(0)
	global_atomic_cmpswap_x2 v[0:1], v26, v[0:3], s[6:7] offset:32 glc
	s_waitcnt vmcnt(0)
	v_cmp_eq_u64_e32 vcc, v[0:1], v[2:3]
	v_mov_b32_e32 v3, v1
	s_or_b64 s[28:29], vcc, s[28:29]
	v_mov_b32_e32 v2, v0
	s_andn2_b64 exec, exec, s[28:29]
	s_cbranch_execnz .LBB6_98
.LBB6_99:                               ;   in Loop: Header=BB6_32 Depth=1
	s_or_b64 exec, exec, s[26:27]
	global_load_dwordx2 v[0:1], v26, s[6:7] offset:16
	s_mov_b64 s[28:29], exec
	v_mbcnt_lo_u32_b32 v2, s28, 0
	v_mbcnt_hi_u32_b32 v2, s29, v2
	v_cmp_eq_u32_e32 vcc, 0, v2
	s_and_saveexec_b64 s[26:27], vcc
	s_cbranch_execz .LBB6_101
; %bb.100:                              ;   in Loop: Header=BB6_32 Depth=1
	s_bcnt1_i32_b64 s15, s[28:29]
	v_mov_b32_e32 v25, s15
	s_waitcnt vmcnt(0)
	global_atomic_add_x2 v[0:1], v[25:26], off offset:8
.LBB6_101:                              ;   in Loop: Header=BB6_32 Depth=1
	s_or_b64 exec, exec, s[26:27]
	s_waitcnt vmcnt(0)
	global_load_dwordx2 v[2:3], v[0:1], off offset:16
	s_waitcnt vmcnt(0)
	v_cmp_eq_u64_e32 vcc, 0, v[2:3]
	s_cbranch_vccnz .LBB6_103
; %bb.102:                              ;   in Loop: Header=BB6_32 Depth=1
	global_load_dword v25, v[0:1], off offset:24
	s_waitcnt vmcnt(0)
	v_and_b32_e32 v0, 0xffffff, v25
	v_readfirstlane_b32 m0, v0
	global_store_dwordx2 v[2:3], v[25:26], off
	s_sendmsg sendmsg(MSG_INTERRUPT)
.LBB6_103:                              ;   in Loop: Header=BB6_32 Depth=1
	s_or_b64 exec, exec, s[24:25]
	v_add_co_u32_e32 v0, vcc, v24, v31
	v_addc_co_u32_e32 v1, vcc, 0, v30, vcc
	s_branch .LBB6_107
.LBB6_104:                              ;   in Loop: Header=BB6_107 Depth=2
	s_or_b64 exec, exec, s[24:25]
	v_readfirstlane_b32 s15, v2
	s_cmp_eq_u32 s15, 0
	s_cbranch_scc1 .LBB6_106
; %bb.105:                              ;   in Loop: Header=BB6_107 Depth=2
	s_sleep 1
	s_cbranch_execnz .LBB6_107
	s_branch .LBB6_109
.LBB6_106:                              ;   in Loop: Header=BB6_32 Depth=1
	s_branch .LBB6_109
.LBB6_107:                              ;   Parent Loop BB6_32 Depth=1
                                        ; =>  This Inner Loop Header: Depth=2
	v_mov_b32_e32 v2, 1
	s_and_saveexec_b64 s[24:25], s[4:5]
	s_cbranch_execz .LBB6_104
; %bb.108:                              ;   in Loop: Header=BB6_107 Depth=2
	global_load_dword v2, v[27:28], off offset:20 glc
	s_waitcnt vmcnt(0)
	buffer_wbinvl1_vol
	v_and_b32_e32 v2, 1, v2
	s_branch .LBB6_104
.LBB6_109:                              ;   in Loop: Header=BB6_32 Depth=1
	global_load_dwordx4 v[0:3], v[0:1], off
	s_and_saveexec_b64 s[24:25], s[4:5]
	s_cbranch_execz .LBB6_31
; %bb.110:                              ;   in Loop: Header=BB6_32 Depth=1
	global_load_dwordx2 v[2:3], v26, s[6:7] offset:40
	global_load_dwordx2 v[6:7], v26, s[6:7] offset:24 glc
	global_load_dwordx2 v[13:14], v26, s[6:7]
	v_mov_b32_e32 v11, s23
	s_waitcnt vmcnt(2)
	v_add_co_u32_e32 v12, vcc, 1, v2
	v_addc_co_u32_e32 v15, vcc, 0, v3, vcc
	v_add_co_u32_e32 v10, vcc, s22, v12
	v_addc_co_u32_e32 v11, vcc, v15, v11, vcc
	v_cmp_eq_u64_e32 vcc, 0, v[10:11]
	v_cndmask_b32_e32 v11, v11, v15, vcc
	v_cndmask_b32_e32 v10, v10, v12, vcc
	v_and_b32_e32 v3, v11, v3
	v_and_b32_e32 v2, v10, v2
	v_mul_lo_u32 v3, v3, 24
	v_mul_hi_u32 v15, v2, 24
	v_mul_lo_u32 v2, v2, 24
	s_waitcnt vmcnt(1)
	v_mov_b32_e32 v12, v6
	v_add_u32_e32 v3, v15, v3
	s_waitcnt vmcnt(0)
	v_add_co_u32_e32 v2, vcc, v13, v2
	v_addc_co_u32_e32 v3, vcc, v14, v3, vcc
	global_store_dwordx2 v[2:3], v[6:7], off
	v_mov_b32_e32 v13, v7
	s_waitcnt vmcnt(0)
	global_atomic_cmpswap_x2 v[12:13], v26, v[10:13], s[6:7] offset:24 glc
	s_waitcnt vmcnt(0)
	v_cmp_ne_u64_e32 vcc, v[12:13], v[6:7]
	s_and_b64 exec, exec, vcc
	s_cbranch_execz .LBB6_31
; %bb.111:                              ;   in Loop: Header=BB6_32 Depth=1
	s_mov_b64 s[4:5], 0
.LBB6_112:                              ;   Parent Loop BB6_32 Depth=1
                                        ; =>  This Inner Loop Header: Depth=2
	s_sleep 1
	global_store_dwordx2 v[2:3], v[12:13], off
	s_waitcnt vmcnt(0)
	global_atomic_cmpswap_x2 v[6:7], v26, v[10:13], s[6:7] offset:24 glc
	s_waitcnt vmcnt(0)
	v_cmp_eq_u64_e32 vcc, v[6:7], v[12:13]
	v_mov_b32_e32 v13, v7
	s_or_b64 s[4:5], vcc, s[4:5]
	v_mov_b32_e32 v12, v6
	s_andn2_b64 exec, exec, s[4:5]
	s_cbranch_execnz .LBB6_112
	s_branch .LBB6_31
.LBB6_113:
	s_branch .LBB6_141
.LBB6_114:
                                        ; implicit-def: $vgpr0_vgpr1
	s_cbranch_execz .LBB6_141
; %bb.115:
	v_readfirstlane_b32 s4, v32
	v_mov_b32_e32 v7, 0
	v_mov_b32_e32 v8, 0
	v_cmp_eq_u32_e64 s[4:5], s4, v32
	s_and_saveexec_b64 s[16:17], s[4:5]
	s_cbranch_execz .LBB6_121
; %bb.116:
	s_waitcnt vmcnt(0)
	v_mov_b32_e32 v0, 0
	global_load_dwordx2 v[9:10], v0, s[6:7] offset:24 glc
	s_waitcnt vmcnt(0)
	buffer_wbinvl1_vol
	global_load_dwordx2 v[1:2], v0, s[6:7] offset:40
	global_load_dwordx2 v[6:7], v0, s[6:7]
	s_waitcnt vmcnt(1)
	v_and_b32_e32 v1, v1, v9
	v_and_b32_e32 v2, v2, v10
	v_mul_lo_u32 v2, v2, 24
	v_mul_hi_u32 v3, v1, 24
	v_mul_lo_u32 v1, v1, 24
	v_add_u32_e32 v2, v3, v2
	s_waitcnt vmcnt(0)
	v_add_co_u32_e32 v1, vcc, v6, v1
	v_addc_co_u32_e32 v2, vcc, v7, v2, vcc
	global_load_dwordx2 v[7:8], v[1:2], off glc
	s_waitcnt vmcnt(0)
	global_atomic_cmpswap_x2 v[7:8], v0, v[7:10], s[6:7] offset:24 glc
	s_waitcnt vmcnt(0)
	buffer_wbinvl1_vol
	v_cmp_ne_u64_e32 vcc, v[7:8], v[9:10]
	s_and_saveexec_b64 s[18:19], vcc
	s_cbranch_execz .LBB6_120
; %bb.117:
	s_mov_b64 s[20:21], 0
.LBB6_118:                              ; =>This Inner Loop Header: Depth=1
	s_sleep 1
	global_load_dwordx2 v[1:2], v0, s[6:7] offset:40
	global_load_dwordx2 v[11:12], v0, s[6:7]
	v_mov_b32_e32 v10, v8
	v_mov_b32_e32 v9, v7
	s_waitcnt vmcnt(1)
	v_and_b32_e32 v1, v1, v9
	s_waitcnt vmcnt(0)
	v_mad_u64_u32 v[6:7], s[22:23], v1, 24, v[11:12]
	v_and_b32_e32 v2, v2, v10
	v_mov_b32_e32 v1, v7
	v_mad_u64_u32 v[1:2], s[22:23], v2, 24, v[1:2]
	v_mov_b32_e32 v7, v1
	global_load_dwordx2 v[7:8], v[6:7], off glc
	s_waitcnt vmcnt(0)
	global_atomic_cmpswap_x2 v[7:8], v0, v[7:10], s[6:7] offset:24 glc
	s_waitcnt vmcnt(0)
	buffer_wbinvl1_vol
	v_cmp_eq_u64_e32 vcc, v[7:8], v[9:10]
	s_or_b64 s[20:21], vcc, s[20:21]
	s_andn2_b64 exec, exec, s[20:21]
	s_cbranch_execnz .LBB6_118
; %bb.119:
	s_or_b64 exec, exec, s[20:21]
.LBB6_120:
	s_or_b64 exec, exec, s[18:19]
.LBB6_121:
	s_or_b64 exec, exec, s[16:17]
	v_mov_b32_e32 v6, 0
	global_load_dwordx2 v[9:10], v6, s[6:7] offset:40
	global_load_dwordx4 v[0:3], v6, s[6:7]
	v_readfirstlane_b32 s16, v7
	v_readfirstlane_b32 s17, v8
	s_mov_b64 s[18:19], exec
	s_waitcnt vmcnt(1)
	v_readfirstlane_b32 s20, v9
	v_readfirstlane_b32 s21, v10
	s_and_b64 s[20:21], s[16:17], s[20:21]
	s_mul_i32 s15, s21, 24
	s_mul_hi_u32 s22, s20, 24
	s_mul_i32 s23, s20, 24
	s_add_i32 s15, s22, s15
	v_mov_b32_e32 v7, s15
	s_waitcnt vmcnt(0)
	v_add_co_u32_e32 v8, vcc, s23, v0
	v_addc_co_u32_e32 v9, vcc, v1, v7, vcc
	s_and_saveexec_b64 s[22:23], s[4:5]
	s_cbranch_execz .LBB6_123
; %bb.122:
	v_mov_b32_e32 v10, s18
	v_mov_b32_e32 v11, s19
	;; [unrolled: 1-line block ×4, first 2 shown]
	global_store_dwordx4 v[8:9], v[10:13], off offset:8
.LBB6_123:
	s_or_b64 exec, exec, s[22:23]
	s_lshl_b64 s[18:19], s[20:21], 12
	v_mov_b32_e32 v7, s19
	v_add_co_u32_e32 v2, vcc, s18, v2
	v_addc_co_u32_e32 v3, vcc, v3, v7, vcc
	s_movk_i32 s15, 0xff1f
	v_and_or_b32 v4, v4, s15, 32
	v_add_co_u32_e32 v10, vcc, v2, v31
	s_mov_b32 s20, 0
	v_mov_b32_e32 v7, v6
	v_readfirstlane_b32 s18, v2
	v_readfirstlane_b32 s19, v3
	v_addc_co_u32_e32 v11, vcc, 0, v3, vcc
	s_mov_b32 s21, s20
	s_mov_b32 s22, s20
	;; [unrolled: 1-line block ×3, first 2 shown]
	s_nop 0
	global_store_dwordx4 v31, v[4:7], s[18:19]
	v_mov_b32_e32 v2, s20
	v_mov_b32_e32 v3, s21
	;; [unrolled: 1-line block ×4, first 2 shown]
	global_store_dwordx4 v31, v[2:5], s[18:19] offset:16
	global_store_dwordx4 v31, v[2:5], s[18:19] offset:32
	;; [unrolled: 1-line block ×3, first 2 shown]
	s_and_saveexec_b64 s[18:19], s[4:5]
	s_cbranch_execz .LBB6_131
; %bb.124:
	v_mov_b32_e32 v6, 0
	global_load_dwordx2 v[14:15], v6, s[6:7] offset:32 glc
	global_load_dwordx2 v[2:3], v6, s[6:7] offset:40
	v_mov_b32_e32 v12, s16
	v_mov_b32_e32 v13, s17
	s_waitcnt vmcnt(0)
	v_readfirstlane_b32 s20, v2
	v_readfirstlane_b32 s21, v3
	s_and_b64 s[20:21], s[20:21], s[16:17]
	s_mul_i32 s15, s21, 24
	s_mul_hi_u32 s21, s20, 24
	s_mul_i32 s20, s20, 24
	s_add_i32 s15, s21, s15
	v_mov_b32_e32 v2, s15
	v_add_co_u32_e32 v4, vcc, s20, v0
	v_addc_co_u32_e32 v5, vcc, v1, v2, vcc
	global_store_dwordx2 v[4:5], v[14:15], off
	s_waitcnt vmcnt(0)
	global_atomic_cmpswap_x2 v[2:3], v6, v[12:15], s[6:7] offset:32 glc
	s_waitcnt vmcnt(0)
	v_cmp_ne_u64_e32 vcc, v[2:3], v[14:15]
	s_and_saveexec_b64 s[20:21], vcc
	s_cbranch_execz .LBB6_127
; %bb.125:
	s_mov_b64 s[22:23], 0
.LBB6_126:                              ; =>This Inner Loop Header: Depth=1
	s_sleep 1
	global_store_dwordx2 v[4:5], v[2:3], off
	v_mov_b32_e32 v0, s16
	v_mov_b32_e32 v1, s17
	s_waitcnt vmcnt(0)
	global_atomic_cmpswap_x2 v[0:1], v6, v[0:3], s[6:7] offset:32 glc
	s_waitcnt vmcnt(0)
	v_cmp_eq_u64_e32 vcc, v[0:1], v[2:3]
	v_mov_b32_e32 v3, v1
	s_or_b64 s[22:23], vcc, s[22:23]
	v_mov_b32_e32 v2, v0
	s_andn2_b64 exec, exec, s[22:23]
	s_cbranch_execnz .LBB6_126
.LBB6_127:
	s_or_b64 exec, exec, s[20:21]
	v_mov_b32_e32 v3, 0
	global_load_dwordx2 v[0:1], v3, s[6:7] offset:16
	s_mov_b64 s[20:21], exec
	v_mbcnt_lo_u32_b32 v2, s20, 0
	v_mbcnt_hi_u32_b32 v2, s21, v2
	v_cmp_eq_u32_e32 vcc, 0, v2
	s_and_saveexec_b64 s[22:23], vcc
	s_cbranch_execz .LBB6_129
; %bb.128:
	s_bcnt1_i32_b64 s15, s[20:21]
	v_mov_b32_e32 v2, s15
	s_waitcnt vmcnt(0)
	global_atomic_add_x2 v[0:1], v[2:3], off offset:8
.LBB6_129:
	s_or_b64 exec, exec, s[22:23]
	s_waitcnt vmcnt(0)
	global_load_dwordx2 v[2:3], v[0:1], off offset:16
	s_waitcnt vmcnt(0)
	v_cmp_eq_u64_e32 vcc, 0, v[2:3]
	s_cbranch_vccnz .LBB6_131
; %bb.130:
	global_load_dword v0, v[0:1], off offset:24
	v_mov_b32_e32 v1, 0
	s_waitcnt vmcnt(0)
	global_store_dwordx2 v[2:3], v[0:1], off
	v_and_b32_e32 v0, 0xffffff, v0
	v_readfirstlane_b32 m0, v0
	s_sendmsg sendmsg(MSG_INTERRUPT)
.LBB6_131:
	s_or_b64 exec, exec, s[18:19]
	s_branch .LBB6_135
.LBB6_132:                              ;   in Loop: Header=BB6_135 Depth=1
	s_or_b64 exec, exec, s[18:19]
	v_readfirstlane_b32 s15, v0
	s_cmp_eq_u32 s15, 0
	s_cbranch_scc1 .LBB6_134
; %bb.133:                              ;   in Loop: Header=BB6_135 Depth=1
	s_sleep 1
	s_cbranch_execnz .LBB6_135
	s_branch .LBB6_137
.LBB6_134:
	s_branch .LBB6_137
.LBB6_135:                              ; =>This Inner Loop Header: Depth=1
	v_mov_b32_e32 v0, 1
	s_and_saveexec_b64 s[18:19], s[4:5]
	s_cbranch_execz .LBB6_132
; %bb.136:                              ;   in Loop: Header=BB6_135 Depth=1
	global_load_dword v0, v[8:9], off offset:20 glc
	s_waitcnt vmcnt(0)
	buffer_wbinvl1_vol
	v_and_b32_e32 v0, 1, v0
	s_branch .LBB6_132
.LBB6_137:
	global_load_dwordx2 v[0:1], v[10:11], off
	s_and_saveexec_b64 s[18:19], s[4:5]
	s_cbranch_execz .LBB6_140
; %bb.138:
	v_mov_b32_e32 v8, 0
	global_load_dwordx2 v[4:5], v8, s[6:7] offset:40
	global_load_dwordx2 v[9:10], v8, s[6:7] offset:24 glc
	global_load_dwordx2 v[6:7], v8, s[6:7]
	v_mov_b32_e32 v3, s17
	s_mov_b64 s[4:5], 0
	s_waitcnt vmcnt(2)
	v_add_co_u32_e32 v11, vcc, 1, v4
	v_addc_co_u32_e32 v12, vcc, 0, v5, vcc
	v_add_co_u32_e32 v2, vcc, s16, v11
	v_addc_co_u32_e32 v3, vcc, v12, v3, vcc
	v_cmp_eq_u64_e32 vcc, 0, v[2:3]
	v_cndmask_b32_e32 v3, v3, v12, vcc
	v_cndmask_b32_e32 v2, v2, v11, vcc
	v_and_b32_e32 v5, v3, v5
	v_and_b32_e32 v4, v2, v4
	v_mul_lo_u32 v5, v5, 24
	v_mul_hi_u32 v11, v4, 24
	v_mul_lo_u32 v12, v4, 24
	s_waitcnt vmcnt(1)
	v_mov_b32_e32 v4, v9
	v_add_u32_e32 v5, v11, v5
	s_waitcnt vmcnt(0)
	v_add_co_u32_e32 v6, vcc, v6, v12
	v_addc_co_u32_e32 v7, vcc, v7, v5, vcc
	global_store_dwordx2 v[6:7], v[9:10], off
	v_mov_b32_e32 v5, v10
	s_waitcnt vmcnt(0)
	global_atomic_cmpswap_x2 v[4:5], v8, v[2:5], s[6:7] offset:24 glc
	s_waitcnt vmcnt(0)
	v_cmp_ne_u64_e32 vcc, v[4:5], v[9:10]
	s_and_b64 exec, exec, vcc
	s_cbranch_execz .LBB6_140
.LBB6_139:                              ; =>This Inner Loop Header: Depth=1
	s_sleep 1
	global_store_dwordx2 v[6:7], v[4:5], off
	s_waitcnt vmcnt(0)
	global_atomic_cmpswap_x2 v[9:10], v8, v[2:5], s[6:7] offset:24 glc
	s_waitcnt vmcnt(0)
	v_cmp_eq_u64_e32 vcc, v[9:10], v[4:5]
	v_mov_b32_e32 v4, v9
	s_or_b64 s[4:5], vcc, s[4:5]
	v_mov_b32_e32 v5, v10
	s_andn2_b64 exec, exec, s[4:5]
	s_cbranch_execnz .LBB6_139
.LBB6_140:
	s_or_b64 exec, exec, s[18:19]
.LBB6_141:
	s_getpc_b64 s[16:17]
	s_add_u32 s16, s16, __PRETTY_FUNCTION__._ZL15sort_duplicatesRN8migraphx4test12test_managerE@rel32@lo+4
	s_addc_u32 s17, s17, __PRETTY_FUNCTION__._ZL15sort_duplicatesRN8migraphx4test12test_managerE@rel32@hi+12
	s_cmp_lg_u64 s[16:17], 0
	s_cbranch_scc0 .LBB6_226
; %bb.142:
	s_waitcnt vmcnt(0)
	v_and_b32_e32 v6, -3, v0
	v_mov_b32_e32 v7, v1
	s_mov_b64 s[18:19], 53
	v_mov_b32_e32 v26, 0
	v_mov_b32_e32 v4, 2
	;; [unrolled: 1-line block ×3, first 2 shown]
	s_branch .LBB6_144
.LBB6_143:                              ;   in Loop: Header=BB6_144 Depth=1
	s_or_b64 exec, exec, s[24:25]
	s_sub_u32 s18, s18, s20
	s_subb_u32 s19, s19, s21
	s_add_u32 s16, s16, s20
	s_addc_u32 s17, s17, s21
	s_cmp_lg_u64 s[18:19], 0
	s_cbranch_scc0 .LBB6_225
.LBB6_144:                              ; =>This Loop Header: Depth=1
                                        ;     Child Loop BB6_147 Depth 2
                                        ;     Child Loop BB6_154 Depth 2
	;; [unrolled: 1-line block ×11, first 2 shown]
	v_cmp_lt_u64_e64 s[4:5], s[18:19], 56
	v_cmp_gt_u64_e64 s[22:23], s[18:19], 7
	s_and_b64 s[4:5], s[4:5], exec
	s_cselect_b32 s21, s19, 0
	s_cselect_b32 s20, s18, 56
	s_and_b64 vcc, exec, s[22:23]
	s_cbranch_vccnz .LBB6_149
; %bb.145:                              ;   in Loop: Header=BB6_144 Depth=1
	s_waitcnt vmcnt(0)
	v_mov_b32_e32 v8, 0
	s_cmp_eq_u64 s[18:19], 0
	v_mov_b32_e32 v9, 0
	s_mov_b64 s[4:5], 0
	s_cbranch_scc1 .LBB6_148
; %bb.146:                              ;   in Loop: Header=BB6_144 Depth=1
	v_mov_b32_e32 v8, 0
	s_lshl_b64 s[22:23], s[20:21], 3
	s_mov_b64 s[24:25], 0
	v_mov_b32_e32 v9, 0
	s_mov_b64 s[26:27], s[16:17]
.LBB6_147:                              ;   Parent Loop BB6_144 Depth=1
                                        ; =>  This Inner Loop Header: Depth=2
	global_load_ubyte v2, v26, s[26:27]
	s_waitcnt vmcnt(0)
	v_and_b32_e32 v25, 0xffff, v2
	v_lshlrev_b64 v[2:3], s24, v[25:26]
	s_add_u32 s24, s24, 8
	s_addc_u32 s25, s25, 0
	s_add_u32 s26, s26, 1
	s_addc_u32 s27, s27, 0
	v_or_b32_e32 v8, v2, v8
	s_cmp_lg_u32 s22, s24
	v_or_b32_e32 v9, v3, v9
	s_cbranch_scc1 .LBB6_147
.LBB6_148:                              ;   in Loop: Header=BB6_144 Depth=1
	s_mov_b32 s15, 0
	s_andn2_b64 vcc, exec, s[4:5]
	s_mov_b64 s[4:5], s[16:17]
	s_cbranch_vccz .LBB6_150
	s_branch .LBB6_151
.LBB6_149:                              ;   in Loop: Header=BB6_144 Depth=1
                                        ; implicit-def: $sgpr15
	s_mov_b64 s[4:5], s[16:17]
.LBB6_150:                              ;   in Loop: Header=BB6_144 Depth=1
	global_load_dwordx2 v[8:9], v26, s[16:17]
	s_add_i32 s15, s20, -8
	s_add_u32 s4, s16, 8
	s_addc_u32 s5, s17, 0
.LBB6_151:                              ;   in Loop: Header=BB6_144 Depth=1
	s_cmp_gt_u32 s15, 7
	s_cbranch_scc1 .LBB6_155
; %bb.152:                              ;   in Loop: Header=BB6_144 Depth=1
	s_cmp_eq_u32 s15, 0
	s_cbranch_scc1 .LBB6_156
; %bb.153:                              ;   in Loop: Header=BB6_144 Depth=1
	v_mov_b32_e32 v10, 0
	s_mov_b64 s[22:23], 0
	v_mov_b32_e32 v11, 0
	s_mov_b64 s[24:25], 0
.LBB6_154:                              ;   Parent Loop BB6_144 Depth=1
                                        ; =>  This Inner Loop Header: Depth=2
	s_add_u32 s26, s4, s24
	s_addc_u32 s27, s5, s25
	global_load_ubyte v2, v26, s[26:27]
	s_add_u32 s24, s24, 1
	s_addc_u32 s25, s25, 0
	s_waitcnt vmcnt(0)
	v_and_b32_e32 v25, 0xffff, v2
	v_lshlrev_b64 v[2:3], s22, v[25:26]
	s_add_u32 s22, s22, 8
	s_addc_u32 s23, s23, 0
	v_or_b32_e32 v10, v2, v10
	s_cmp_lg_u32 s15, s24
	v_or_b32_e32 v11, v3, v11
	s_cbranch_scc1 .LBB6_154
	s_branch .LBB6_157
.LBB6_155:                              ;   in Loop: Header=BB6_144 Depth=1
                                        ; implicit-def: $vgpr10_vgpr11
                                        ; implicit-def: $sgpr26
	s_branch .LBB6_158
.LBB6_156:                              ;   in Loop: Header=BB6_144 Depth=1
	v_mov_b32_e32 v10, 0
	v_mov_b32_e32 v11, 0
.LBB6_157:                              ;   in Loop: Header=BB6_144 Depth=1
	s_mov_b32 s26, 0
	s_cbranch_execnz .LBB6_159
.LBB6_158:                              ;   in Loop: Header=BB6_144 Depth=1
	global_load_dwordx2 v[10:11], v26, s[4:5]
	s_add_i32 s26, s15, -8
	s_add_u32 s4, s4, 8
	s_addc_u32 s5, s5, 0
.LBB6_159:                              ;   in Loop: Header=BB6_144 Depth=1
	s_cmp_gt_u32 s26, 7
	s_cbranch_scc1 .LBB6_163
; %bb.160:                              ;   in Loop: Header=BB6_144 Depth=1
	s_cmp_eq_u32 s26, 0
	s_cbranch_scc1 .LBB6_164
; %bb.161:                              ;   in Loop: Header=BB6_144 Depth=1
	v_mov_b32_e32 v12, 0
	s_mov_b64 s[22:23], 0
	v_mov_b32_e32 v13, 0
	s_mov_b64 s[24:25], 0
.LBB6_162:                              ;   Parent Loop BB6_144 Depth=1
                                        ; =>  This Inner Loop Header: Depth=2
	s_add_u32 s28, s4, s24
	s_addc_u32 s29, s5, s25
	global_load_ubyte v2, v26, s[28:29]
	s_add_u32 s24, s24, 1
	s_addc_u32 s25, s25, 0
	s_waitcnt vmcnt(0)
	v_and_b32_e32 v25, 0xffff, v2
	v_lshlrev_b64 v[2:3], s22, v[25:26]
	s_add_u32 s22, s22, 8
	s_addc_u32 s23, s23, 0
	v_or_b32_e32 v12, v2, v12
	s_cmp_lg_u32 s26, s24
	v_or_b32_e32 v13, v3, v13
	s_cbranch_scc1 .LBB6_162
	s_branch .LBB6_165
.LBB6_163:                              ;   in Loop: Header=BB6_144 Depth=1
                                        ; implicit-def: $sgpr15
	s_branch .LBB6_166
.LBB6_164:                              ;   in Loop: Header=BB6_144 Depth=1
	v_mov_b32_e32 v12, 0
	v_mov_b32_e32 v13, 0
.LBB6_165:                              ;   in Loop: Header=BB6_144 Depth=1
	s_mov_b32 s15, 0
	s_cbranch_execnz .LBB6_167
.LBB6_166:                              ;   in Loop: Header=BB6_144 Depth=1
	global_load_dwordx2 v[12:13], v26, s[4:5]
	s_add_i32 s15, s26, -8
	s_add_u32 s4, s4, 8
	s_addc_u32 s5, s5, 0
.LBB6_167:                              ;   in Loop: Header=BB6_144 Depth=1
	s_cmp_gt_u32 s15, 7
	s_cbranch_scc1 .LBB6_171
; %bb.168:                              ;   in Loop: Header=BB6_144 Depth=1
	s_cmp_eq_u32 s15, 0
	s_cbranch_scc1 .LBB6_172
; %bb.169:                              ;   in Loop: Header=BB6_144 Depth=1
	v_mov_b32_e32 v14, 0
	s_mov_b64 s[22:23], 0
	v_mov_b32_e32 v15, 0
	s_mov_b64 s[24:25], 0
.LBB6_170:                              ;   Parent Loop BB6_144 Depth=1
                                        ; =>  This Inner Loop Header: Depth=2
	s_add_u32 s26, s4, s24
	s_addc_u32 s27, s5, s25
	global_load_ubyte v2, v26, s[26:27]
	s_add_u32 s24, s24, 1
	s_addc_u32 s25, s25, 0
	s_waitcnt vmcnt(0)
	v_and_b32_e32 v25, 0xffff, v2
	v_lshlrev_b64 v[2:3], s22, v[25:26]
	s_add_u32 s22, s22, 8
	s_addc_u32 s23, s23, 0
	v_or_b32_e32 v14, v2, v14
	s_cmp_lg_u32 s15, s24
	v_or_b32_e32 v15, v3, v15
	s_cbranch_scc1 .LBB6_170
	s_branch .LBB6_173
.LBB6_171:                              ;   in Loop: Header=BB6_144 Depth=1
                                        ; implicit-def: $vgpr14_vgpr15
                                        ; implicit-def: $sgpr26
	s_branch .LBB6_174
.LBB6_172:                              ;   in Loop: Header=BB6_144 Depth=1
	v_mov_b32_e32 v14, 0
	v_mov_b32_e32 v15, 0
.LBB6_173:                              ;   in Loop: Header=BB6_144 Depth=1
	s_mov_b32 s26, 0
	s_cbranch_execnz .LBB6_175
.LBB6_174:                              ;   in Loop: Header=BB6_144 Depth=1
	global_load_dwordx2 v[14:15], v26, s[4:5]
	s_add_i32 s26, s15, -8
	s_add_u32 s4, s4, 8
	s_addc_u32 s5, s5, 0
.LBB6_175:                              ;   in Loop: Header=BB6_144 Depth=1
	s_cmp_gt_u32 s26, 7
	s_cbranch_scc1 .LBB6_179
; %bb.176:                              ;   in Loop: Header=BB6_144 Depth=1
	s_cmp_eq_u32 s26, 0
	s_cbranch_scc1 .LBB6_180
; %bb.177:                              ;   in Loop: Header=BB6_144 Depth=1
	v_mov_b32_e32 v16, 0
	s_mov_b64 s[22:23], 0
	v_mov_b32_e32 v17, 0
	s_mov_b64 s[24:25], 0
.LBB6_178:                              ;   Parent Loop BB6_144 Depth=1
                                        ; =>  This Inner Loop Header: Depth=2
	s_add_u32 s28, s4, s24
	s_addc_u32 s29, s5, s25
	global_load_ubyte v2, v26, s[28:29]
	s_add_u32 s24, s24, 1
	s_addc_u32 s25, s25, 0
	s_waitcnt vmcnt(0)
	v_and_b32_e32 v25, 0xffff, v2
	v_lshlrev_b64 v[2:3], s22, v[25:26]
	s_add_u32 s22, s22, 8
	s_addc_u32 s23, s23, 0
	v_or_b32_e32 v16, v2, v16
	s_cmp_lg_u32 s26, s24
	v_or_b32_e32 v17, v3, v17
	s_cbranch_scc1 .LBB6_178
	s_branch .LBB6_181
.LBB6_179:                              ;   in Loop: Header=BB6_144 Depth=1
                                        ; implicit-def: $sgpr15
	s_branch .LBB6_182
.LBB6_180:                              ;   in Loop: Header=BB6_144 Depth=1
	v_mov_b32_e32 v16, 0
	v_mov_b32_e32 v17, 0
.LBB6_181:                              ;   in Loop: Header=BB6_144 Depth=1
	s_mov_b32 s15, 0
	s_cbranch_execnz .LBB6_183
.LBB6_182:                              ;   in Loop: Header=BB6_144 Depth=1
	global_load_dwordx2 v[16:17], v26, s[4:5]
	s_add_i32 s15, s26, -8
	s_add_u32 s4, s4, 8
	s_addc_u32 s5, s5, 0
.LBB6_183:                              ;   in Loop: Header=BB6_144 Depth=1
	s_cmp_gt_u32 s15, 7
	s_cbranch_scc1 .LBB6_187
; %bb.184:                              ;   in Loop: Header=BB6_144 Depth=1
	s_cmp_eq_u32 s15, 0
	s_cbranch_scc1 .LBB6_188
; %bb.185:                              ;   in Loop: Header=BB6_144 Depth=1
	v_mov_b32_e32 v18, 0
	s_mov_b64 s[22:23], 0
	v_mov_b32_e32 v19, 0
	s_mov_b64 s[24:25], 0
.LBB6_186:                              ;   Parent Loop BB6_144 Depth=1
                                        ; =>  This Inner Loop Header: Depth=2
	s_add_u32 s26, s4, s24
	s_addc_u32 s27, s5, s25
	global_load_ubyte v2, v26, s[26:27]
	s_add_u32 s24, s24, 1
	s_addc_u32 s25, s25, 0
	s_waitcnt vmcnt(0)
	v_and_b32_e32 v25, 0xffff, v2
	v_lshlrev_b64 v[2:3], s22, v[25:26]
	s_add_u32 s22, s22, 8
	s_addc_u32 s23, s23, 0
	v_or_b32_e32 v18, v2, v18
	s_cmp_lg_u32 s15, s24
	v_or_b32_e32 v19, v3, v19
	s_cbranch_scc1 .LBB6_186
	s_branch .LBB6_189
.LBB6_187:                              ;   in Loop: Header=BB6_144 Depth=1
                                        ; implicit-def: $vgpr18_vgpr19
                                        ; implicit-def: $sgpr26
	s_branch .LBB6_190
.LBB6_188:                              ;   in Loop: Header=BB6_144 Depth=1
	v_mov_b32_e32 v18, 0
	v_mov_b32_e32 v19, 0
.LBB6_189:                              ;   in Loop: Header=BB6_144 Depth=1
	s_mov_b32 s26, 0
	s_cbranch_execnz .LBB6_191
.LBB6_190:                              ;   in Loop: Header=BB6_144 Depth=1
	global_load_dwordx2 v[18:19], v26, s[4:5]
	s_add_i32 s26, s15, -8
	s_add_u32 s4, s4, 8
	s_addc_u32 s5, s5, 0
.LBB6_191:                              ;   in Loop: Header=BB6_144 Depth=1
	s_cmp_gt_u32 s26, 7
	s_cbranch_scc1 .LBB6_195
; %bb.192:                              ;   in Loop: Header=BB6_144 Depth=1
	s_cmp_eq_u32 s26, 0
	s_cbranch_scc1 .LBB6_196
; %bb.193:                              ;   in Loop: Header=BB6_144 Depth=1
	v_mov_b32_e32 v20, 0
	s_mov_b64 s[22:23], 0
	v_mov_b32_e32 v21, 0
	s_mov_b64 s[24:25], s[4:5]
.LBB6_194:                              ;   Parent Loop BB6_144 Depth=1
                                        ; =>  This Inner Loop Header: Depth=2
	global_load_ubyte v2, v26, s[24:25]
	s_add_i32 s26, s26, -1
	s_waitcnt vmcnt(0)
	v_and_b32_e32 v25, 0xffff, v2
	v_lshlrev_b64 v[2:3], s22, v[25:26]
	s_add_u32 s22, s22, 8
	s_addc_u32 s23, s23, 0
	s_add_u32 s24, s24, 1
	s_addc_u32 s25, s25, 0
	v_or_b32_e32 v20, v2, v20
	s_cmp_lg_u32 s26, 0
	v_or_b32_e32 v21, v3, v21
	s_cbranch_scc1 .LBB6_194
	s_branch .LBB6_197
.LBB6_195:                              ;   in Loop: Header=BB6_144 Depth=1
	s_branch .LBB6_198
.LBB6_196:                              ;   in Loop: Header=BB6_144 Depth=1
	v_mov_b32_e32 v20, 0
	v_mov_b32_e32 v21, 0
.LBB6_197:                              ;   in Loop: Header=BB6_144 Depth=1
	s_cbranch_execnz .LBB6_199
.LBB6_198:                              ;   in Loop: Header=BB6_144 Depth=1
	global_load_dwordx2 v[20:21], v26, s[4:5]
.LBB6_199:                              ;   in Loop: Header=BB6_144 Depth=1
	v_readfirstlane_b32 s4, v32
	v_mov_b32_e32 v2, 0
	v_mov_b32_e32 v3, 0
	v_cmp_eq_u32_e64 s[4:5], s4, v32
	s_and_saveexec_b64 s[22:23], s[4:5]
	s_cbranch_execz .LBB6_205
; %bb.200:                              ;   in Loop: Header=BB6_144 Depth=1
	global_load_dwordx2 v[24:25], v26, s[6:7] offset:24 glc
	s_waitcnt vmcnt(0)
	buffer_wbinvl1_vol
	global_load_dwordx2 v[2:3], v26, s[6:7] offset:40
	global_load_dwordx2 v[22:23], v26, s[6:7]
	s_waitcnt vmcnt(1)
	v_and_b32_e32 v2, v2, v24
	v_and_b32_e32 v3, v3, v25
	v_mul_lo_u32 v3, v3, 24
	v_mul_hi_u32 v27, v2, 24
	v_mul_lo_u32 v2, v2, 24
	v_add_u32_e32 v3, v27, v3
	s_waitcnt vmcnt(0)
	v_add_co_u32_e32 v2, vcc, v22, v2
	v_addc_co_u32_e32 v3, vcc, v23, v3, vcc
	global_load_dwordx2 v[22:23], v[2:3], off glc
	s_waitcnt vmcnt(0)
	global_atomic_cmpswap_x2 v[2:3], v26, v[22:25], s[6:7] offset:24 glc
	s_waitcnt vmcnt(0)
	buffer_wbinvl1_vol
	v_cmp_ne_u64_e32 vcc, v[2:3], v[24:25]
	s_and_saveexec_b64 s[24:25], vcc
	s_cbranch_execz .LBB6_204
; %bb.201:                              ;   in Loop: Header=BB6_144 Depth=1
	s_mov_b64 s[26:27], 0
.LBB6_202:                              ;   Parent Loop BB6_144 Depth=1
                                        ; =>  This Inner Loop Header: Depth=2
	s_sleep 1
	global_load_dwordx2 v[22:23], v26, s[6:7] offset:40
	global_load_dwordx2 v[27:28], v26, s[6:7]
	v_mov_b32_e32 v25, v3
	v_mov_b32_e32 v24, v2
	s_waitcnt vmcnt(1)
	v_and_b32_e32 v2, v22, v24
	s_waitcnt vmcnt(0)
	v_mad_u64_u32 v[2:3], s[28:29], v2, 24, v[27:28]
	v_and_b32_e32 v22, v23, v25
	v_mad_u64_u32 v[22:23], s[28:29], v22, 24, v[3:4]
	v_mov_b32_e32 v3, v22
	global_load_dwordx2 v[22:23], v[2:3], off glc
	s_waitcnt vmcnt(0)
	global_atomic_cmpswap_x2 v[2:3], v26, v[22:25], s[6:7] offset:24 glc
	s_waitcnt vmcnt(0)
	buffer_wbinvl1_vol
	v_cmp_eq_u64_e32 vcc, v[2:3], v[24:25]
	s_or_b64 s[26:27], vcc, s[26:27]
	s_andn2_b64 exec, exec, s[26:27]
	s_cbranch_execnz .LBB6_202
; %bb.203:                              ;   in Loop: Header=BB6_144 Depth=1
	s_or_b64 exec, exec, s[26:27]
.LBB6_204:                              ;   in Loop: Header=BB6_144 Depth=1
	s_or_b64 exec, exec, s[24:25]
.LBB6_205:                              ;   in Loop: Header=BB6_144 Depth=1
	s_or_b64 exec, exec, s[22:23]
	global_load_dwordx2 v[27:28], v26, s[6:7] offset:40
	global_load_dwordx4 v[22:25], v26, s[6:7]
	v_readfirstlane_b32 s22, v2
	v_readfirstlane_b32 s23, v3
	s_mov_b64 s[24:25], exec
	s_waitcnt vmcnt(1)
	v_readfirstlane_b32 s26, v27
	v_readfirstlane_b32 s27, v28
	s_and_b64 s[26:27], s[22:23], s[26:27]
	s_mul_i32 s15, s27, 24
	s_mul_hi_u32 s28, s26, 24
	s_mul_i32 s29, s26, 24
	s_add_i32 s15, s28, s15
	v_mov_b32_e32 v2, s15
	s_waitcnt vmcnt(0)
	v_add_co_u32_e32 v27, vcc, s29, v22
	v_addc_co_u32_e32 v28, vcc, v23, v2, vcc
	s_and_saveexec_b64 s[28:29], s[4:5]
	s_cbranch_execz .LBB6_207
; %bb.206:                              ;   in Loop: Header=BB6_144 Depth=1
	v_mov_b32_e32 v2, s24
	v_mov_b32_e32 v3, s25
	global_store_dwordx4 v[27:28], v[2:5], off offset:8
.LBB6_207:                              ;   in Loop: Header=BB6_144 Depth=1
	s_or_b64 exec, exec, s[28:29]
	s_lshl_b64 s[24:25], s[26:27], 12
	v_mov_b32_e32 v2, s25
	v_add_co_u32_e32 v24, vcc, s24, v24
	v_addc_co_u32_e32 v29, vcc, v25, v2, vcc
	v_cmp_gt_u64_e64 vcc, s[18:19], 56
	v_or_b32_e32 v2, 2, v6
	s_lshl_b32 s15, s20, 2
	v_cndmask_b32_e32 v2, v2, v6, vcc
	s_add_i32 s15, s15, 28
	s_and_b32 s15, s15, 0x1e0
	v_and_b32_e32 v2, 0xffffff1f, v2
	v_or_b32_e32 v6, s15, v2
	v_readfirstlane_b32 s24, v24
	v_readfirstlane_b32 s25, v29
	s_nop 4
	global_store_dwordx4 v31, v[6:9], s[24:25]
	global_store_dwordx4 v31, v[10:13], s[24:25] offset:16
	global_store_dwordx4 v31, v[14:17], s[24:25] offset:32
	;; [unrolled: 1-line block ×3, first 2 shown]
	s_and_saveexec_b64 s[24:25], s[4:5]
	s_cbranch_execz .LBB6_215
; %bb.208:                              ;   in Loop: Header=BB6_144 Depth=1
	global_load_dwordx2 v[10:11], v26, s[6:7] offset:32 glc
	global_load_dwordx2 v[2:3], v26, s[6:7] offset:40
	v_mov_b32_e32 v8, s22
	v_mov_b32_e32 v9, s23
	s_waitcnt vmcnt(0)
	v_readfirstlane_b32 s26, v2
	v_readfirstlane_b32 s27, v3
	s_and_b64 s[26:27], s[26:27], s[22:23]
	s_mul_i32 s15, s27, 24
	s_mul_hi_u32 s27, s26, 24
	s_mul_i32 s26, s26, 24
	s_add_i32 s15, s27, s15
	v_mov_b32_e32 v3, s15
	v_add_co_u32_e32 v2, vcc, s26, v22
	v_addc_co_u32_e32 v3, vcc, v23, v3, vcc
	global_store_dwordx2 v[2:3], v[10:11], off
	s_waitcnt vmcnt(0)
	global_atomic_cmpswap_x2 v[8:9], v26, v[8:11], s[6:7] offset:32 glc
	s_waitcnt vmcnt(0)
	v_cmp_ne_u64_e32 vcc, v[8:9], v[10:11]
	s_and_saveexec_b64 s[26:27], vcc
	s_cbranch_execz .LBB6_211
; %bb.209:                              ;   in Loop: Header=BB6_144 Depth=1
	s_mov_b64 s[28:29], 0
.LBB6_210:                              ;   Parent Loop BB6_144 Depth=1
                                        ; =>  This Inner Loop Header: Depth=2
	s_sleep 1
	global_store_dwordx2 v[2:3], v[8:9], off
	v_mov_b32_e32 v6, s22
	v_mov_b32_e32 v7, s23
	s_waitcnt vmcnt(0)
	global_atomic_cmpswap_x2 v[6:7], v26, v[6:9], s[6:7] offset:32 glc
	s_waitcnt vmcnt(0)
	v_cmp_eq_u64_e32 vcc, v[6:7], v[8:9]
	v_mov_b32_e32 v9, v7
	s_or_b64 s[28:29], vcc, s[28:29]
	v_mov_b32_e32 v8, v6
	s_andn2_b64 exec, exec, s[28:29]
	s_cbranch_execnz .LBB6_210
.LBB6_211:                              ;   in Loop: Header=BB6_144 Depth=1
	s_or_b64 exec, exec, s[26:27]
	global_load_dwordx2 v[2:3], v26, s[6:7] offset:16
	s_mov_b64 s[28:29], exec
	v_mbcnt_lo_u32_b32 v6, s28, 0
	v_mbcnt_hi_u32_b32 v6, s29, v6
	v_cmp_eq_u32_e32 vcc, 0, v6
	s_and_saveexec_b64 s[26:27], vcc
	s_cbranch_execz .LBB6_213
; %bb.212:                              ;   in Loop: Header=BB6_144 Depth=1
	s_bcnt1_i32_b64 s15, s[28:29]
	v_mov_b32_e32 v25, s15
	s_waitcnt vmcnt(0)
	global_atomic_add_x2 v[2:3], v[25:26], off offset:8
.LBB6_213:                              ;   in Loop: Header=BB6_144 Depth=1
	s_or_b64 exec, exec, s[26:27]
	s_waitcnt vmcnt(0)
	global_load_dwordx2 v[6:7], v[2:3], off offset:16
	s_waitcnt vmcnt(0)
	v_cmp_eq_u64_e32 vcc, 0, v[6:7]
	s_cbranch_vccnz .LBB6_215
; %bb.214:                              ;   in Loop: Header=BB6_144 Depth=1
	global_load_dword v25, v[2:3], off offset:24
	s_waitcnt vmcnt(0)
	v_and_b32_e32 v2, 0xffffff, v25
	v_readfirstlane_b32 m0, v2
	global_store_dwordx2 v[6:7], v[25:26], off
	s_sendmsg sendmsg(MSG_INTERRUPT)
.LBB6_215:                              ;   in Loop: Header=BB6_144 Depth=1
	s_or_b64 exec, exec, s[24:25]
	v_add_co_u32_e32 v2, vcc, v24, v31
	v_addc_co_u32_e32 v3, vcc, 0, v29, vcc
	s_branch .LBB6_219
.LBB6_216:                              ;   in Loop: Header=BB6_219 Depth=2
	s_or_b64 exec, exec, s[24:25]
	v_readfirstlane_b32 s15, v6
	s_cmp_eq_u32 s15, 0
	s_cbranch_scc1 .LBB6_218
; %bb.217:                              ;   in Loop: Header=BB6_219 Depth=2
	s_sleep 1
	s_cbranch_execnz .LBB6_219
	s_branch .LBB6_221
.LBB6_218:                              ;   in Loop: Header=BB6_144 Depth=1
	s_branch .LBB6_221
.LBB6_219:                              ;   Parent Loop BB6_144 Depth=1
                                        ; =>  This Inner Loop Header: Depth=2
	v_mov_b32_e32 v6, 1
	s_and_saveexec_b64 s[24:25], s[4:5]
	s_cbranch_execz .LBB6_216
; %bb.220:                              ;   in Loop: Header=BB6_219 Depth=2
	global_load_dword v6, v[27:28], off offset:20 glc
	s_waitcnt vmcnt(0)
	buffer_wbinvl1_vol
	v_and_b32_e32 v6, 1, v6
	s_branch .LBB6_216
.LBB6_221:                              ;   in Loop: Header=BB6_144 Depth=1
	global_load_dwordx4 v[6:9], v[2:3], off
	s_and_saveexec_b64 s[24:25], s[4:5]
	s_cbranch_execz .LBB6_143
; %bb.222:                              ;   in Loop: Header=BB6_144 Depth=1
	global_load_dwordx2 v[2:3], v26, s[6:7] offset:40
	global_load_dwordx2 v[12:13], v26, s[6:7] offset:24 glc
	global_load_dwordx2 v[14:15], v26, s[6:7]
	s_waitcnt vmcnt(3)
	v_mov_b32_e32 v9, s23
	s_waitcnt vmcnt(2)
	v_add_co_u32_e32 v10, vcc, 1, v2
	v_addc_co_u32_e32 v11, vcc, 0, v3, vcc
	v_add_co_u32_e32 v8, vcc, s22, v10
	v_addc_co_u32_e32 v9, vcc, v11, v9, vcc
	v_cmp_eq_u64_e32 vcc, 0, v[8:9]
	v_cndmask_b32_e32 v9, v9, v11, vcc
	v_cndmask_b32_e32 v8, v8, v10, vcc
	v_and_b32_e32 v3, v9, v3
	v_and_b32_e32 v2, v8, v2
	v_mul_lo_u32 v3, v3, 24
	v_mul_hi_u32 v11, v2, 24
	v_mul_lo_u32 v2, v2, 24
	s_waitcnt vmcnt(1)
	v_mov_b32_e32 v10, v12
	v_add_u32_e32 v3, v11, v3
	s_waitcnt vmcnt(0)
	v_add_co_u32_e32 v2, vcc, v14, v2
	v_addc_co_u32_e32 v3, vcc, v15, v3, vcc
	global_store_dwordx2 v[2:3], v[12:13], off
	v_mov_b32_e32 v11, v13
	s_waitcnt vmcnt(0)
	global_atomic_cmpswap_x2 v[10:11], v26, v[8:11], s[6:7] offset:24 glc
	s_waitcnt vmcnt(0)
	v_cmp_ne_u64_e32 vcc, v[10:11], v[12:13]
	s_and_b64 exec, exec, vcc
	s_cbranch_execz .LBB6_143
; %bb.223:                              ;   in Loop: Header=BB6_144 Depth=1
	s_mov_b64 s[4:5], 0
.LBB6_224:                              ;   Parent Loop BB6_144 Depth=1
                                        ; =>  This Inner Loop Header: Depth=2
	s_sleep 1
	global_store_dwordx2 v[2:3], v[10:11], off
	s_waitcnt vmcnt(0)
	global_atomic_cmpswap_x2 v[12:13], v26, v[8:11], s[6:7] offset:24 glc
	s_waitcnt vmcnt(0)
	v_cmp_eq_u64_e32 vcc, v[12:13], v[10:11]
	v_mov_b32_e32 v10, v12
	s_or_b64 s[4:5], vcc, s[4:5]
	v_mov_b32_e32 v11, v13
	s_andn2_b64 exec, exec, s[4:5]
	s_cbranch_execnz .LBB6_224
	s_branch .LBB6_143
.LBB6_225:
	s_branch .LBB6_253
.LBB6_226:
	s_cbranch_execz .LBB6_253
; %bb.227:
	v_readfirstlane_b32 s4, v32
	s_waitcnt vmcnt(0)
	v_mov_b32_e32 v8, 0
	v_mov_b32_e32 v9, 0
	v_cmp_eq_u32_e64 s[4:5], s4, v32
	s_and_saveexec_b64 s[16:17], s[4:5]
	s_cbranch_execz .LBB6_233
; %bb.228:
	v_mov_b32_e32 v2, 0
	global_load_dwordx2 v[5:6], v2, s[6:7] offset:24 glc
	s_waitcnt vmcnt(0)
	buffer_wbinvl1_vol
	global_load_dwordx2 v[3:4], v2, s[6:7] offset:40
	global_load_dwordx2 v[7:8], v2, s[6:7]
	s_waitcnt vmcnt(1)
	v_and_b32_e32 v3, v3, v5
	v_and_b32_e32 v4, v4, v6
	v_mul_lo_u32 v4, v4, 24
	v_mul_hi_u32 v9, v3, 24
	v_mul_lo_u32 v3, v3, 24
	v_add_u32_e32 v4, v9, v4
	s_waitcnt vmcnt(0)
	v_add_co_u32_e32 v3, vcc, v7, v3
	v_addc_co_u32_e32 v4, vcc, v8, v4, vcc
	global_load_dwordx2 v[3:4], v[3:4], off glc
	s_waitcnt vmcnt(0)
	global_atomic_cmpswap_x2 v[8:9], v2, v[3:6], s[6:7] offset:24 glc
	s_waitcnt vmcnt(0)
	buffer_wbinvl1_vol
	v_cmp_ne_u64_e32 vcc, v[8:9], v[5:6]
	s_and_saveexec_b64 s[18:19], vcc
	s_cbranch_execz .LBB6_232
; %bb.229:
	s_mov_b64 s[20:21], 0
.LBB6_230:                              ; =>This Inner Loop Header: Depth=1
	s_sleep 1
	global_load_dwordx2 v[3:4], v2, s[6:7] offset:40
	global_load_dwordx2 v[10:11], v2, s[6:7]
	v_mov_b32_e32 v5, v8
	v_mov_b32_e32 v6, v9
	s_waitcnt vmcnt(1)
	v_and_b32_e32 v3, v3, v5
	s_waitcnt vmcnt(0)
	v_mad_u64_u32 v[7:8], s[22:23], v3, 24, v[10:11]
	v_and_b32_e32 v4, v4, v6
	v_mov_b32_e32 v3, v8
	v_mad_u64_u32 v[3:4], s[22:23], v4, 24, v[3:4]
	v_mov_b32_e32 v8, v3
	global_load_dwordx2 v[3:4], v[7:8], off glc
	s_waitcnt vmcnt(0)
	global_atomic_cmpswap_x2 v[8:9], v2, v[3:6], s[6:7] offset:24 glc
	s_waitcnt vmcnt(0)
	buffer_wbinvl1_vol
	v_cmp_eq_u64_e32 vcc, v[8:9], v[5:6]
	s_or_b64 s[20:21], vcc, s[20:21]
	s_andn2_b64 exec, exec, s[20:21]
	s_cbranch_execnz .LBB6_230
; %bb.231:
	s_or_b64 exec, exec, s[20:21]
.LBB6_232:
	s_or_b64 exec, exec, s[18:19]
.LBB6_233:
	s_or_b64 exec, exec, s[16:17]
	v_mov_b32_e32 v2, 0
	global_load_dwordx2 v[10:11], v2, s[6:7] offset:40
	global_load_dwordx4 v[4:7], v2, s[6:7]
	v_readfirstlane_b32 s16, v8
	v_readfirstlane_b32 s17, v9
	s_mov_b64 s[18:19], exec
	s_waitcnt vmcnt(1)
	v_readfirstlane_b32 s20, v10
	v_readfirstlane_b32 s21, v11
	s_and_b64 s[20:21], s[16:17], s[20:21]
	s_mul_i32 s15, s21, 24
	s_mul_hi_u32 s22, s20, 24
	s_mul_i32 s23, s20, 24
	s_add_i32 s15, s22, s15
	v_mov_b32_e32 v3, s15
	s_waitcnt vmcnt(0)
	v_add_co_u32_e32 v8, vcc, s23, v4
	v_addc_co_u32_e32 v9, vcc, v5, v3, vcc
	s_and_saveexec_b64 s[22:23], s[4:5]
	s_cbranch_execz .LBB6_235
; %bb.234:
	v_mov_b32_e32 v10, s18
	v_mov_b32_e32 v11, s19
	;; [unrolled: 1-line block ×4, first 2 shown]
	global_store_dwordx4 v[8:9], v[10:13], off offset:8
.LBB6_235:
	s_or_b64 exec, exec, s[22:23]
	s_lshl_b64 s[18:19], s[20:21], 12
	v_mov_b32_e32 v3, s19
	v_add_co_u32_e32 v6, vcc, s18, v6
	v_addc_co_u32_e32 v7, vcc, v7, v3, vcc
	s_movk_i32 s15, 0xff1d
	v_and_or_b32 v0, v0, s15, 34
	s_mov_b32 s20, 0
	v_mov_b32_e32 v3, v2
	v_readfirstlane_b32 s18, v6
	v_readfirstlane_b32 s19, v7
	s_mov_b32 s21, s20
	s_mov_b32 s22, s20
	;; [unrolled: 1-line block ×3, first 2 shown]
	s_nop 1
	global_store_dwordx4 v31, v[0:3], s[18:19]
	s_nop 0
	v_mov_b32_e32 v0, s20
	v_mov_b32_e32 v1, s21
	;; [unrolled: 1-line block ×4, first 2 shown]
	global_store_dwordx4 v31, v[0:3], s[18:19] offset:16
	global_store_dwordx4 v31, v[0:3], s[18:19] offset:32
	;; [unrolled: 1-line block ×3, first 2 shown]
	s_and_saveexec_b64 s[18:19], s[4:5]
	s_cbranch_execz .LBB6_243
; %bb.236:
	v_mov_b32_e32 v6, 0
	global_load_dwordx2 v[12:13], v6, s[6:7] offset:32 glc
	global_load_dwordx2 v[0:1], v6, s[6:7] offset:40
	v_mov_b32_e32 v10, s16
	v_mov_b32_e32 v11, s17
	s_waitcnt vmcnt(0)
	v_readfirstlane_b32 s20, v0
	v_readfirstlane_b32 s21, v1
	s_and_b64 s[20:21], s[20:21], s[16:17]
	s_mul_i32 s15, s21, 24
	s_mul_hi_u32 s21, s20, 24
	s_mul_i32 s20, s20, 24
	s_add_i32 s15, s21, s15
	v_mov_b32_e32 v0, s15
	v_add_co_u32_e32 v4, vcc, s20, v4
	v_addc_co_u32_e32 v5, vcc, v5, v0, vcc
	global_store_dwordx2 v[4:5], v[12:13], off
	s_waitcnt vmcnt(0)
	global_atomic_cmpswap_x2 v[2:3], v6, v[10:13], s[6:7] offset:32 glc
	s_waitcnt vmcnt(0)
	v_cmp_ne_u64_e32 vcc, v[2:3], v[12:13]
	s_and_saveexec_b64 s[20:21], vcc
	s_cbranch_execz .LBB6_239
; %bb.237:
	s_mov_b64 s[22:23], 0
.LBB6_238:                              ; =>This Inner Loop Header: Depth=1
	s_sleep 1
	global_store_dwordx2 v[4:5], v[2:3], off
	v_mov_b32_e32 v0, s16
	v_mov_b32_e32 v1, s17
	s_waitcnt vmcnt(0)
	global_atomic_cmpswap_x2 v[0:1], v6, v[0:3], s[6:7] offset:32 glc
	s_waitcnt vmcnt(0)
	v_cmp_eq_u64_e32 vcc, v[0:1], v[2:3]
	v_mov_b32_e32 v3, v1
	s_or_b64 s[22:23], vcc, s[22:23]
	v_mov_b32_e32 v2, v0
	s_andn2_b64 exec, exec, s[22:23]
	s_cbranch_execnz .LBB6_238
.LBB6_239:
	s_or_b64 exec, exec, s[20:21]
	v_mov_b32_e32 v3, 0
	global_load_dwordx2 v[0:1], v3, s[6:7] offset:16
	s_mov_b64 s[20:21], exec
	v_mbcnt_lo_u32_b32 v2, s20, 0
	v_mbcnt_hi_u32_b32 v2, s21, v2
	v_cmp_eq_u32_e32 vcc, 0, v2
	s_and_saveexec_b64 s[22:23], vcc
	s_cbranch_execz .LBB6_241
; %bb.240:
	s_bcnt1_i32_b64 s15, s[20:21]
	v_mov_b32_e32 v2, s15
	s_waitcnt vmcnt(0)
	global_atomic_add_x2 v[0:1], v[2:3], off offset:8
.LBB6_241:
	s_or_b64 exec, exec, s[22:23]
	s_waitcnt vmcnt(0)
	global_load_dwordx2 v[2:3], v[0:1], off offset:16
	s_waitcnt vmcnt(0)
	v_cmp_eq_u64_e32 vcc, 0, v[2:3]
	s_cbranch_vccnz .LBB6_243
; %bb.242:
	global_load_dword v0, v[0:1], off offset:24
	v_mov_b32_e32 v1, 0
	s_waitcnt vmcnt(0)
	global_store_dwordx2 v[2:3], v[0:1], off
	v_and_b32_e32 v0, 0xffffff, v0
	v_readfirstlane_b32 m0, v0
	s_sendmsg sendmsg(MSG_INTERRUPT)
.LBB6_243:
	s_or_b64 exec, exec, s[18:19]
	s_branch .LBB6_247
.LBB6_244:                              ;   in Loop: Header=BB6_247 Depth=1
	s_or_b64 exec, exec, s[18:19]
	v_readfirstlane_b32 s15, v0
	s_cmp_eq_u32 s15, 0
	s_cbranch_scc1 .LBB6_246
; %bb.245:                              ;   in Loop: Header=BB6_247 Depth=1
	s_sleep 1
	s_cbranch_execnz .LBB6_247
	s_branch .LBB6_249
.LBB6_246:
	s_branch .LBB6_249
.LBB6_247:                              ; =>This Inner Loop Header: Depth=1
	v_mov_b32_e32 v0, 1
	s_and_saveexec_b64 s[18:19], s[4:5]
	s_cbranch_execz .LBB6_244
; %bb.248:                              ;   in Loop: Header=BB6_247 Depth=1
	global_load_dword v0, v[8:9], off offset:20 glc
	s_waitcnt vmcnt(0)
	buffer_wbinvl1_vol
	v_and_b32_e32 v0, 1, v0
	s_branch .LBB6_244
.LBB6_249:
	s_and_saveexec_b64 s[18:19], s[4:5]
	s_cbranch_execz .LBB6_252
; %bb.250:
	v_mov_b32_e32 v6, 0
	global_load_dwordx2 v[2:3], v6, s[6:7] offset:40
	global_load_dwordx2 v[7:8], v6, s[6:7] offset:24 glc
	global_load_dwordx2 v[4:5], v6, s[6:7]
	v_mov_b32_e32 v1, s17
	s_mov_b64 s[4:5], 0
	s_waitcnt vmcnt(2)
	v_add_co_u32_e32 v9, vcc, 1, v2
	v_addc_co_u32_e32 v10, vcc, 0, v3, vcc
	v_add_co_u32_e32 v0, vcc, s16, v9
	v_addc_co_u32_e32 v1, vcc, v10, v1, vcc
	v_cmp_eq_u64_e32 vcc, 0, v[0:1]
	v_cndmask_b32_e32 v1, v1, v10, vcc
	v_cndmask_b32_e32 v0, v0, v9, vcc
	v_and_b32_e32 v3, v1, v3
	v_and_b32_e32 v2, v0, v2
	v_mul_lo_u32 v3, v3, 24
	v_mul_hi_u32 v9, v2, 24
	v_mul_lo_u32 v10, v2, 24
	s_waitcnt vmcnt(1)
	v_mov_b32_e32 v2, v7
	v_add_u32_e32 v3, v9, v3
	s_waitcnt vmcnt(0)
	v_add_co_u32_e32 v4, vcc, v4, v10
	v_addc_co_u32_e32 v5, vcc, v5, v3, vcc
	global_store_dwordx2 v[4:5], v[7:8], off
	v_mov_b32_e32 v3, v8
	s_waitcnt vmcnt(0)
	global_atomic_cmpswap_x2 v[2:3], v6, v[0:3], s[6:7] offset:24 glc
	s_waitcnt vmcnt(0)
	v_cmp_ne_u64_e32 vcc, v[2:3], v[7:8]
	s_and_b64 exec, exec, vcc
	s_cbranch_execz .LBB6_252
.LBB6_251:                              ; =>This Inner Loop Header: Depth=1
	s_sleep 1
	global_store_dwordx2 v[4:5], v[2:3], off
	s_waitcnt vmcnt(0)
	global_atomic_cmpswap_x2 v[7:8], v6, v[0:3], s[6:7] offset:24 glc
	s_waitcnt vmcnt(0)
	v_cmp_eq_u64_e32 vcc, v[7:8], v[2:3]
	v_mov_b32_e32 v2, v7
	s_or_b64 s[4:5], vcc, s[4:5]
	v_mov_b32_e32 v3, v8
	s_andn2_b64 exec, exec, s[4:5]
	s_cbranch_execnz .LBB6_251
.LBB6_252:
	s_or_b64 exec, exec, s[18:19]
.LBB6_253:
	v_readfirstlane_b32 s4, v32
	s_waitcnt vmcnt(0)
	v_mov_b32_e32 v5, 0
	v_mov_b32_e32 v6, 0
	v_cmp_eq_u32_e64 s[4:5], s4, v32
	s_and_saveexec_b64 s[16:17], s[4:5]
	s_cbranch_execz .LBB6_259
; %bb.254:
	v_mov_b32_e32 v0, 0
	global_load_dwordx2 v[3:4], v0, s[6:7] offset:24 glc
	s_waitcnt vmcnt(0)
	buffer_wbinvl1_vol
	global_load_dwordx2 v[1:2], v0, s[6:7] offset:40
	global_load_dwordx2 v[5:6], v0, s[6:7]
	s_waitcnt vmcnt(1)
	v_and_b32_e32 v1, v1, v3
	v_and_b32_e32 v2, v2, v4
	v_mul_lo_u32 v2, v2, 24
	v_mul_hi_u32 v7, v1, 24
	v_mul_lo_u32 v1, v1, 24
	v_add_u32_e32 v2, v7, v2
	s_waitcnt vmcnt(0)
	v_add_co_u32_e32 v1, vcc, v5, v1
	v_addc_co_u32_e32 v2, vcc, v6, v2, vcc
	global_load_dwordx2 v[1:2], v[1:2], off glc
	s_waitcnt vmcnt(0)
	global_atomic_cmpswap_x2 v[5:6], v0, v[1:4], s[6:7] offset:24 glc
	s_waitcnt vmcnt(0)
	buffer_wbinvl1_vol
	v_cmp_ne_u64_e32 vcc, v[5:6], v[3:4]
	s_and_saveexec_b64 s[18:19], vcc
	s_cbranch_execz .LBB6_258
; %bb.255:
	s_mov_b64 s[20:21], 0
.LBB6_256:                              ; =>This Inner Loop Header: Depth=1
	s_sleep 1
	global_load_dwordx2 v[1:2], v0, s[6:7] offset:40
	global_load_dwordx2 v[7:8], v0, s[6:7]
	v_mov_b32_e32 v3, v5
	v_mov_b32_e32 v4, v6
	s_waitcnt vmcnt(1)
	v_and_b32_e32 v1, v1, v3
	s_waitcnt vmcnt(0)
	v_mad_u64_u32 v[5:6], s[22:23], v1, 24, v[7:8]
	v_and_b32_e32 v2, v2, v4
	v_mov_b32_e32 v1, v6
	v_mad_u64_u32 v[1:2], s[22:23], v2, 24, v[1:2]
	v_mov_b32_e32 v6, v1
	global_load_dwordx2 v[1:2], v[5:6], off glc
	s_waitcnt vmcnt(0)
	global_atomic_cmpswap_x2 v[5:6], v0, v[1:4], s[6:7] offset:24 glc
	s_waitcnt vmcnt(0)
	buffer_wbinvl1_vol
	v_cmp_eq_u64_e32 vcc, v[5:6], v[3:4]
	s_or_b64 s[20:21], vcc, s[20:21]
	s_andn2_b64 exec, exec, s[20:21]
	s_cbranch_execnz .LBB6_256
; %bb.257:
	s_or_b64 exec, exec, s[20:21]
.LBB6_258:
	s_or_b64 exec, exec, s[18:19]
.LBB6_259:
	s_or_b64 exec, exec, s[16:17]
	v_mov_b32_e32 v4, 0
	global_load_dwordx2 v[7:8], v4, s[6:7] offset:40
	global_load_dwordx4 v[0:3], v4, s[6:7]
	v_readfirstlane_b32 s16, v5
	v_readfirstlane_b32 s17, v6
	s_mov_b64 s[18:19], exec
	s_waitcnt vmcnt(1)
	v_readfirstlane_b32 s20, v7
	v_readfirstlane_b32 s21, v8
	s_and_b64 s[20:21], s[16:17], s[20:21]
	s_mul_i32 s15, s21, 24
	s_mul_hi_u32 s22, s20, 24
	s_mul_i32 s23, s20, 24
	s_add_i32 s15, s22, s15
	v_mov_b32_e32 v5, s15
	s_waitcnt vmcnt(0)
	v_add_co_u32_e32 v7, vcc, s23, v0
	v_addc_co_u32_e32 v8, vcc, v1, v5, vcc
	s_and_saveexec_b64 s[22:23], s[4:5]
	s_cbranch_execz .LBB6_261
; %bb.260:
	v_mov_b32_e32 v9, s18
	v_mov_b32_e32 v10, s19
	;; [unrolled: 1-line block ×4, first 2 shown]
	global_store_dwordx4 v[7:8], v[9:12], off offset:8
.LBB6_261:
	s_or_b64 exec, exec, s[22:23]
	s_lshl_b64 s[18:19], s[20:21], 12
	v_mov_b32_e32 v5, s19
	v_add_co_u32_e32 v2, vcc, s18, v2
	v_addc_co_u32_e32 v11, vcc, v3, v5, vcc
	s_mov_b32 s20, 0
	v_mov_b32_e32 v3, 33
	v_mov_b32_e32 v5, v4
	;; [unrolled: 1-line block ×3, first 2 shown]
	v_readfirstlane_b32 s18, v2
	v_readfirstlane_b32 s19, v11
	v_add_co_u32_e32 v9, vcc, v2, v31
	s_mov_b32 s21, s20
	s_mov_b32 s22, s20
	;; [unrolled: 1-line block ×3, first 2 shown]
	s_nop 0
	global_store_dwordx4 v31, v[3:6], s[18:19]
	v_mov_b32_e32 v2, s20
	v_addc_co_u32_e32 v10, vcc, 0, v11, vcc
	v_mov_b32_e32 v3, s21
	v_mov_b32_e32 v4, s22
	;; [unrolled: 1-line block ×3, first 2 shown]
	global_store_dwordx4 v31, v[2:5], s[18:19] offset:16
	global_store_dwordx4 v31, v[2:5], s[18:19] offset:32
	;; [unrolled: 1-line block ×3, first 2 shown]
	s_and_saveexec_b64 s[18:19], s[4:5]
	s_cbranch_execz .LBB6_269
; %bb.262:
	v_mov_b32_e32 v6, 0
	global_load_dwordx2 v[13:14], v6, s[6:7] offset:32 glc
	global_load_dwordx2 v[2:3], v6, s[6:7] offset:40
	v_mov_b32_e32 v11, s16
	v_mov_b32_e32 v12, s17
	s_waitcnt vmcnt(0)
	v_readfirstlane_b32 s20, v2
	v_readfirstlane_b32 s21, v3
	s_and_b64 s[20:21], s[20:21], s[16:17]
	s_mul_i32 s15, s21, 24
	s_mul_hi_u32 s21, s20, 24
	s_mul_i32 s20, s20, 24
	s_add_i32 s15, s21, s15
	v_mov_b32_e32 v2, s15
	v_add_co_u32_e32 v4, vcc, s20, v0
	v_addc_co_u32_e32 v5, vcc, v1, v2, vcc
	global_store_dwordx2 v[4:5], v[13:14], off
	s_waitcnt vmcnt(0)
	global_atomic_cmpswap_x2 v[2:3], v6, v[11:14], s[6:7] offset:32 glc
	s_waitcnt vmcnt(0)
	v_cmp_ne_u64_e32 vcc, v[2:3], v[13:14]
	s_and_saveexec_b64 s[20:21], vcc
	s_cbranch_execz .LBB6_265
; %bb.263:
	s_mov_b64 s[22:23], 0
.LBB6_264:                              ; =>This Inner Loop Header: Depth=1
	s_sleep 1
	global_store_dwordx2 v[4:5], v[2:3], off
	v_mov_b32_e32 v0, s16
	v_mov_b32_e32 v1, s17
	s_waitcnt vmcnt(0)
	global_atomic_cmpswap_x2 v[0:1], v6, v[0:3], s[6:7] offset:32 glc
	s_waitcnt vmcnt(0)
	v_cmp_eq_u64_e32 vcc, v[0:1], v[2:3]
	v_mov_b32_e32 v3, v1
	s_or_b64 s[22:23], vcc, s[22:23]
	v_mov_b32_e32 v2, v0
	s_andn2_b64 exec, exec, s[22:23]
	s_cbranch_execnz .LBB6_264
.LBB6_265:
	s_or_b64 exec, exec, s[20:21]
	v_mov_b32_e32 v3, 0
	global_load_dwordx2 v[0:1], v3, s[6:7] offset:16
	s_mov_b64 s[20:21], exec
	v_mbcnt_lo_u32_b32 v2, s20, 0
	v_mbcnt_hi_u32_b32 v2, s21, v2
	v_cmp_eq_u32_e32 vcc, 0, v2
	s_and_saveexec_b64 s[22:23], vcc
	s_cbranch_execz .LBB6_267
; %bb.266:
	s_bcnt1_i32_b64 s15, s[20:21]
	v_mov_b32_e32 v2, s15
	s_waitcnt vmcnt(0)
	global_atomic_add_x2 v[0:1], v[2:3], off offset:8
.LBB6_267:
	s_or_b64 exec, exec, s[22:23]
	s_waitcnt vmcnt(0)
	global_load_dwordx2 v[2:3], v[0:1], off offset:16
	s_waitcnt vmcnt(0)
	v_cmp_eq_u64_e32 vcc, 0, v[2:3]
	s_cbranch_vccnz .LBB6_269
; %bb.268:
	global_load_dword v0, v[0:1], off offset:24
	v_mov_b32_e32 v1, 0
	s_waitcnt vmcnt(0)
	global_store_dwordx2 v[2:3], v[0:1], off
	v_and_b32_e32 v0, 0xffffff, v0
	v_readfirstlane_b32 m0, v0
	s_sendmsg sendmsg(MSG_INTERRUPT)
.LBB6_269:
	s_or_b64 exec, exec, s[18:19]
	s_branch .LBB6_273
.LBB6_270:                              ;   in Loop: Header=BB6_273 Depth=1
	s_or_b64 exec, exec, s[18:19]
	v_readfirstlane_b32 s15, v0
	s_cmp_eq_u32 s15, 0
	s_cbranch_scc1 .LBB6_272
; %bb.271:                              ;   in Loop: Header=BB6_273 Depth=1
	s_sleep 1
	s_cbranch_execnz .LBB6_273
	s_branch .LBB6_275
.LBB6_272:
	s_branch .LBB6_275
.LBB6_273:                              ; =>This Inner Loop Header: Depth=1
	v_mov_b32_e32 v0, 1
	s_and_saveexec_b64 s[18:19], s[4:5]
	s_cbranch_execz .LBB6_270
; %bb.274:                              ;   in Loop: Header=BB6_273 Depth=1
	global_load_dword v0, v[7:8], off offset:20 glc
	s_waitcnt vmcnt(0)
	buffer_wbinvl1_vol
	v_and_b32_e32 v0, 1, v0
	s_branch .LBB6_270
.LBB6_275:
	global_load_dwordx2 v[0:1], v[9:10], off
	s_and_saveexec_b64 s[18:19], s[4:5]
	s_cbranch_execz .LBB6_278
; %bb.276:
	v_mov_b32_e32 v8, 0
	global_load_dwordx2 v[4:5], v8, s[6:7] offset:40
	global_load_dwordx2 v[9:10], v8, s[6:7] offset:24 glc
	global_load_dwordx2 v[6:7], v8, s[6:7]
	v_mov_b32_e32 v3, s17
	s_mov_b64 s[4:5], 0
	s_waitcnt vmcnt(2)
	v_add_co_u32_e32 v11, vcc, 1, v4
	v_addc_co_u32_e32 v12, vcc, 0, v5, vcc
	v_add_co_u32_e32 v2, vcc, s16, v11
	v_addc_co_u32_e32 v3, vcc, v12, v3, vcc
	v_cmp_eq_u64_e32 vcc, 0, v[2:3]
	v_cndmask_b32_e32 v3, v3, v12, vcc
	v_cndmask_b32_e32 v2, v2, v11, vcc
	v_and_b32_e32 v5, v3, v5
	v_and_b32_e32 v4, v2, v4
	v_mul_lo_u32 v5, v5, 24
	v_mul_hi_u32 v11, v4, 24
	v_mul_lo_u32 v12, v4, 24
	s_waitcnt vmcnt(1)
	v_mov_b32_e32 v4, v9
	v_add_u32_e32 v5, v11, v5
	s_waitcnt vmcnt(0)
	v_add_co_u32_e32 v6, vcc, v6, v12
	v_addc_co_u32_e32 v7, vcc, v7, v5, vcc
	global_store_dwordx2 v[6:7], v[9:10], off
	v_mov_b32_e32 v5, v10
	s_waitcnt vmcnt(0)
	global_atomic_cmpswap_x2 v[4:5], v8, v[2:5], s[6:7] offset:24 glc
	s_waitcnt vmcnt(0)
	v_cmp_ne_u64_e32 vcc, v[4:5], v[9:10]
	s_and_b64 exec, exec, vcc
	s_cbranch_execz .LBB6_278
.LBB6_277:                              ; =>This Inner Loop Header: Depth=1
	s_sleep 1
	global_store_dwordx2 v[6:7], v[4:5], off
	s_waitcnt vmcnt(0)
	global_atomic_cmpswap_x2 v[9:10], v8, v[2:5], s[6:7] offset:24 glc
	s_waitcnt vmcnt(0)
	v_cmp_eq_u64_e32 vcc, v[9:10], v[4:5]
	v_mov_b32_e32 v4, v9
	s_or_b64 s[4:5], vcc, s[4:5]
	v_mov_b32_e32 v5, v10
	s_andn2_b64 exec, exec, s[4:5]
	s_cbranch_execnz .LBB6_277
.LBB6_278:
	s_or_b64 exec, exec, s[18:19]
	s_getpc_b64 s[18:19]
	s_add_u32 s18, s18, .str.6@rel32@lo+4
	s_addc_u32 s19, s19, .str.6@rel32@hi+12
	s_cmp_lg_u64 s[18:19], 0
	s_cselect_b64 s[16:17], -1, 0
	s_and_b64 vcc, exec, s[16:17]
	s_cbranch_vccz .LBB6_363
; %bb.279:
	s_waitcnt vmcnt(0)
	v_and_b32_e32 v33, 2, v0
	v_mov_b32_e32 v28, 0
	v_and_b32_e32 v2, -3, v0
	v_mov_b32_e32 v3, v1
	s_mov_b64 s[20:21], 3
	v_mov_b32_e32 v6, 2
	v_mov_b32_e32 v7, 1
	s_branch .LBB6_281
.LBB6_280:                              ;   in Loop: Header=BB6_281 Depth=1
	s_or_b64 exec, exec, s[26:27]
	s_sub_u32 s20, s20, s22
	s_subb_u32 s21, s21, s23
	s_add_u32 s18, s18, s22
	s_addc_u32 s19, s19, s23
	s_cmp_lg_u64 s[20:21], 0
	s_cbranch_scc0 .LBB6_362
.LBB6_281:                              ; =>This Loop Header: Depth=1
                                        ;     Child Loop BB6_284 Depth 2
                                        ;     Child Loop BB6_291 Depth 2
                                        ;     Child Loop BB6_299 Depth 2
                                        ;     Child Loop BB6_307 Depth 2
                                        ;     Child Loop BB6_315 Depth 2
                                        ;     Child Loop BB6_323 Depth 2
                                        ;     Child Loop BB6_331 Depth 2
                                        ;     Child Loop BB6_339 Depth 2
                                        ;     Child Loop BB6_347 Depth 2
                                        ;     Child Loop BB6_356 Depth 2
                                        ;     Child Loop BB6_361 Depth 2
	v_cmp_lt_u64_e64 s[4:5], s[20:21], 56
	v_cmp_gt_u64_e64 s[24:25], s[20:21], 7
	s_and_b64 s[4:5], s[4:5], exec
	s_cselect_b32 s23, s21, 0
	s_cselect_b32 s22, s20, 56
	s_and_b64 vcc, exec, s[24:25]
	s_cbranch_vccnz .LBB6_286
; %bb.282:                              ;   in Loop: Header=BB6_281 Depth=1
	v_mov_b32_e32 v10, 0
	s_cmp_eq_u64 s[20:21], 0
	v_mov_b32_e32 v11, 0
	s_mov_b64 s[4:5], 0
	s_cbranch_scc1 .LBB6_285
; %bb.283:                              ;   in Loop: Header=BB6_281 Depth=1
	v_mov_b32_e32 v10, 0
	s_lshl_b64 s[24:25], s[22:23], 3
	s_mov_b64 s[26:27], 0
	v_mov_b32_e32 v11, 0
	s_mov_b64 s[28:29], s[18:19]
.LBB6_284:                              ;   Parent Loop BB6_281 Depth=1
                                        ; =>  This Inner Loop Header: Depth=2
	global_load_ubyte v4, v28, s[28:29]
	s_waitcnt vmcnt(0)
	v_and_b32_e32 v27, 0xffff, v4
	v_lshlrev_b64 v[4:5], s26, v[27:28]
	s_add_u32 s26, s26, 8
	s_addc_u32 s27, s27, 0
	s_add_u32 s28, s28, 1
	s_addc_u32 s29, s29, 0
	v_or_b32_e32 v10, v4, v10
	s_cmp_lg_u32 s24, s26
	v_or_b32_e32 v11, v5, v11
	s_cbranch_scc1 .LBB6_284
.LBB6_285:                              ;   in Loop: Header=BB6_281 Depth=1
	s_mov_b32 s15, 0
	s_andn2_b64 vcc, exec, s[4:5]
	s_mov_b64 s[4:5], s[18:19]
	s_cbranch_vccz .LBB6_287
	s_branch .LBB6_288
.LBB6_286:                              ;   in Loop: Header=BB6_281 Depth=1
                                        ; implicit-def: $vgpr10_vgpr11
                                        ; implicit-def: $sgpr15
	s_mov_b64 s[4:5], s[18:19]
.LBB6_287:                              ;   in Loop: Header=BB6_281 Depth=1
	global_load_dwordx2 v[10:11], v28, s[18:19]
	s_add_i32 s15, s22, -8
	s_add_u32 s4, s18, 8
	s_addc_u32 s5, s19, 0
.LBB6_288:                              ;   in Loop: Header=BB6_281 Depth=1
	s_cmp_gt_u32 s15, 7
	s_cbranch_scc1 .LBB6_292
; %bb.289:                              ;   in Loop: Header=BB6_281 Depth=1
	s_cmp_eq_u32 s15, 0
	s_cbranch_scc1 .LBB6_293
; %bb.290:                              ;   in Loop: Header=BB6_281 Depth=1
	v_mov_b32_e32 v12, 0
	s_mov_b64 s[24:25], 0
	v_mov_b32_e32 v13, 0
	s_mov_b64 s[26:27], 0
.LBB6_291:                              ;   Parent Loop BB6_281 Depth=1
                                        ; =>  This Inner Loop Header: Depth=2
	s_add_u32 s28, s4, s26
	s_addc_u32 s29, s5, s27
	global_load_ubyte v4, v28, s[28:29]
	s_add_u32 s26, s26, 1
	s_addc_u32 s27, s27, 0
	s_waitcnt vmcnt(0)
	v_and_b32_e32 v27, 0xffff, v4
	v_lshlrev_b64 v[4:5], s24, v[27:28]
	s_add_u32 s24, s24, 8
	s_addc_u32 s25, s25, 0
	v_or_b32_e32 v12, v4, v12
	s_cmp_lg_u32 s15, s26
	v_or_b32_e32 v13, v5, v13
	s_cbranch_scc1 .LBB6_291
	s_branch .LBB6_294
.LBB6_292:                              ;   in Loop: Header=BB6_281 Depth=1
                                        ; implicit-def: $vgpr12_vgpr13
                                        ; implicit-def: $sgpr28
	s_branch .LBB6_295
.LBB6_293:                              ;   in Loop: Header=BB6_281 Depth=1
	v_mov_b32_e32 v12, 0
	v_mov_b32_e32 v13, 0
.LBB6_294:                              ;   in Loop: Header=BB6_281 Depth=1
	s_mov_b32 s28, 0
	s_cbranch_execnz .LBB6_296
.LBB6_295:                              ;   in Loop: Header=BB6_281 Depth=1
	global_load_dwordx2 v[12:13], v28, s[4:5]
	s_add_i32 s28, s15, -8
	s_add_u32 s4, s4, 8
	s_addc_u32 s5, s5, 0
.LBB6_296:                              ;   in Loop: Header=BB6_281 Depth=1
	s_cmp_gt_u32 s28, 7
	s_cbranch_scc1 .LBB6_300
; %bb.297:                              ;   in Loop: Header=BB6_281 Depth=1
	s_cmp_eq_u32 s28, 0
	s_cbranch_scc1 .LBB6_301
; %bb.298:                              ;   in Loop: Header=BB6_281 Depth=1
	v_mov_b32_e32 v14, 0
	s_mov_b64 s[24:25], 0
	v_mov_b32_e32 v15, 0
	s_mov_b64 s[26:27], 0
.LBB6_299:                              ;   Parent Loop BB6_281 Depth=1
                                        ; =>  This Inner Loop Header: Depth=2
	s_add_u32 vcc_lo, s4, s26
	s_addc_u32 vcc_hi, s5, s27
	global_load_ubyte v4, v28, vcc
	s_add_u32 s26, s26, 1
	s_addc_u32 s27, s27, 0
	s_waitcnt vmcnt(0)
	v_and_b32_e32 v27, 0xffff, v4
	v_lshlrev_b64 v[4:5], s24, v[27:28]
	s_add_u32 s24, s24, 8
	s_addc_u32 s25, s25, 0
	v_or_b32_e32 v14, v4, v14
	s_cmp_lg_u32 s28, s26
	v_or_b32_e32 v15, v5, v15
	s_cbranch_scc1 .LBB6_299
	s_branch .LBB6_302
.LBB6_300:                              ;   in Loop: Header=BB6_281 Depth=1
                                        ; implicit-def: $sgpr15
	s_branch .LBB6_303
.LBB6_301:                              ;   in Loop: Header=BB6_281 Depth=1
	v_mov_b32_e32 v14, 0
	v_mov_b32_e32 v15, 0
.LBB6_302:                              ;   in Loop: Header=BB6_281 Depth=1
	s_mov_b32 s15, 0
	s_cbranch_execnz .LBB6_304
.LBB6_303:                              ;   in Loop: Header=BB6_281 Depth=1
	global_load_dwordx2 v[14:15], v28, s[4:5]
	s_add_i32 s15, s28, -8
	s_add_u32 s4, s4, 8
	s_addc_u32 s5, s5, 0
.LBB6_304:                              ;   in Loop: Header=BB6_281 Depth=1
	s_cmp_gt_u32 s15, 7
	s_cbranch_scc1 .LBB6_308
; %bb.305:                              ;   in Loop: Header=BB6_281 Depth=1
	s_cmp_eq_u32 s15, 0
	s_cbranch_scc1 .LBB6_309
; %bb.306:                              ;   in Loop: Header=BB6_281 Depth=1
	v_mov_b32_e32 v16, 0
	s_mov_b64 s[24:25], 0
	v_mov_b32_e32 v17, 0
	s_mov_b64 s[26:27], 0
.LBB6_307:                              ;   Parent Loop BB6_281 Depth=1
                                        ; =>  This Inner Loop Header: Depth=2
	s_add_u32 s28, s4, s26
	s_addc_u32 s29, s5, s27
	global_load_ubyte v4, v28, s[28:29]
	s_add_u32 s26, s26, 1
	s_addc_u32 s27, s27, 0
	s_waitcnt vmcnt(0)
	v_and_b32_e32 v27, 0xffff, v4
	v_lshlrev_b64 v[4:5], s24, v[27:28]
	s_add_u32 s24, s24, 8
	s_addc_u32 s25, s25, 0
	v_or_b32_e32 v16, v4, v16
	s_cmp_lg_u32 s15, s26
	v_or_b32_e32 v17, v5, v17
	s_cbranch_scc1 .LBB6_307
	s_branch .LBB6_310
.LBB6_308:                              ;   in Loop: Header=BB6_281 Depth=1
                                        ; implicit-def: $vgpr16_vgpr17
                                        ; implicit-def: $sgpr28
	s_branch .LBB6_311
.LBB6_309:                              ;   in Loop: Header=BB6_281 Depth=1
	v_mov_b32_e32 v16, 0
	v_mov_b32_e32 v17, 0
.LBB6_310:                              ;   in Loop: Header=BB6_281 Depth=1
	s_mov_b32 s28, 0
	s_cbranch_execnz .LBB6_312
.LBB6_311:                              ;   in Loop: Header=BB6_281 Depth=1
	global_load_dwordx2 v[16:17], v28, s[4:5]
	s_add_i32 s28, s15, -8
	s_add_u32 s4, s4, 8
	s_addc_u32 s5, s5, 0
.LBB6_312:                              ;   in Loop: Header=BB6_281 Depth=1
	s_cmp_gt_u32 s28, 7
	s_cbranch_scc1 .LBB6_316
; %bb.313:                              ;   in Loop: Header=BB6_281 Depth=1
	s_cmp_eq_u32 s28, 0
	s_cbranch_scc1 .LBB6_317
; %bb.314:                              ;   in Loop: Header=BB6_281 Depth=1
	v_mov_b32_e32 v18, 0
	s_mov_b64 s[24:25], 0
	v_mov_b32_e32 v19, 0
	s_mov_b64 s[26:27], 0
.LBB6_315:                              ;   Parent Loop BB6_281 Depth=1
                                        ; =>  This Inner Loop Header: Depth=2
	s_add_u32 vcc_lo, s4, s26
	s_addc_u32 vcc_hi, s5, s27
	global_load_ubyte v4, v28, vcc
	s_add_u32 s26, s26, 1
	s_addc_u32 s27, s27, 0
	s_waitcnt vmcnt(0)
	v_and_b32_e32 v27, 0xffff, v4
	v_lshlrev_b64 v[4:5], s24, v[27:28]
	s_add_u32 s24, s24, 8
	s_addc_u32 s25, s25, 0
	v_or_b32_e32 v18, v4, v18
	s_cmp_lg_u32 s28, s26
	v_or_b32_e32 v19, v5, v19
	s_cbranch_scc1 .LBB6_315
	s_branch .LBB6_318
.LBB6_316:                              ;   in Loop: Header=BB6_281 Depth=1
                                        ; implicit-def: $sgpr15
	s_branch .LBB6_319
.LBB6_317:                              ;   in Loop: Header=BB6_281 Depth=1
	v_mov_b32_e32 v18, 0
	v_mov_b32_e32 v19, 0
.LBB6_318:                              ;   in Loop: Header=BB6_281 Depth=1
	s_mov_b32 s15, 0
	s_cbranch_execnz .LBB6_320
.LBB6_319:                              ;   in Loop: Header=BB6_281 Depth=1
	global_load_dwordx2 v[18:19], v28, s[4:5]
	s_add_i32 s15, s28, -8
	s_add_u32 s4, s4, 8
	s_addc_u32 s5, s5, 0
.LBB6_320:                              ;   in Loop: Header=BB6_281 Depth=1
	s_cmp_gt_u32 s15, 7
	s_cbranch_scc1 .LBB6_324
; %bb.321:                              ;   in Loop: Header=BB6_281 Depth=1
	s_cmp_eq_u32 s15, 0
	s_cbranch_scc1 .LBB6_325
; %bb.322:                              ;   in Loop: Header=BB6_281 Depth=1
	v_mov_b32_e32 v20, 0
	s_mov_b64 s[24:25], 0
	v_mov_b32_e32 v21, 0
	s_mov_b64 s[26:27], 0
.LBB6_323:                              ;   Parent Loop BB6_281 Depth=1
                                        ; =>  This Inner Loop Header: Depth=2
	s_add_u32 s28, s4, s26
	s_addc_u32 s29, s5, s27
	global_load_ubyte v4, v28, s[28:29]
	s_add_u32 s26, s26, 1
	s_addc_u32 s27, s27, 0
	s_waitcnt vmcnt(0)
	v_and_b32_e32 v27, 0xffff, v4
	v_lshlrev_b64 v[4:5], s24, v[27:28]
	s_add_u32 s24, s24, 8
	s_addc_u32 s25, s25, 0
	v_or_b32_e32 v20, v4, v20
	s_cmp_lg_u32 s15, s26
	v_or_b32_e32 v21, v5, v21
	s_cbranch_scc1 .LBB6_323
	s_branch .LBB6_326
.LBB6_324:                              ;   in Loop: Header=BB6_281 Depth=1
                                        ; implicit-def: $vgpr20_vgpr21
                                        ; implicit-def: $sgpr28
	s_branch .LBB6_327
.LBB6_325:                              ;   in Loop: Header=BB6_281 Depth=1
	v_mov_b32_e32 v20, 0
	v_mov_b32_e32 v21, 0
.LBB6_326:                              ;   in Loop: Header=BB6_281 Depth=1
	s_mov_b32 s28, 0
	s_cbranch_execnz .LBB6_328
.LBB6_327:                              ;   in Loop: Header=BB6_281 Depth=1
	global_load_dwordx2 v[20:21], v28, s[4:5]
	s_add_i32 s28, s15, -8
	s_add_u32 s4, s4, 8
	s_addc_u32 s5, s5, 0
.LBB6_328:                              ;   in Loop: Header=BB6_281 Depth=1
	s_cmp_gt_u32 s28, 7
	s_cbranch_scc1 .LBB6_332
; %bb.329:                              ;   in Loop: Header=BB6_281 Depth=1
	s_cmp_eq_u32 s28, 0
	s_cbranch_scc1 .LBB6_333
; %bb.330:                              ;   in Loop: Header=BB6_281 Depth=1
	v_mov_b32_e32 v22, 0
	s_mov_b64 s[24:25], 0
	v_mov_b32_e32 v23, 0
	s_mov_b64 s[26:27], s[4:5]
.LBB6_331:                              ;   Parent Loop BB6_281 Depth=1
                                        ; =>  This Inner Loop Header: Depth=2
	global_load_ubyte v4, v28, s[26:27]
	s_add_i32 s28, s28, -1
	s_waitcnt vmcnt(0)
	v_and_b32_e32 v27, 0xffff, v4
	v_lshlrev_b64 v[4:5], s24, v[27:28]
	s_add_u32 s24, s24, 8
	s_addc_u32 s25, s25, 0
	s_add_u32 s26, s26, 1
	s_addc_u32 s27, s27, 0
	v_or_b32_e32 v22, v4, v22
	s_cmp_lg_u32 s28, 0
	v_or_b32_e32 v23, v5, v23
	s_cbranch_scc1 .LBB6_331
	s_branch .LBB6_334
.LBB6_332:                              ;   in Loop: Header=BB6_281 Depth=1
	s_branch .LBB6_335
.LBB6_333:                              ;   in Loop: Header=BB6_281 Depth=1
	v_mov_b32_e32 v22, 0
	v_mov_b32_e32 v23, 0
.LBB6_334:                              ;   in Loop: Header=BB6_281 Depth=1
	s_cbranch_execnz .LBB6_336
.LBB6_335:                              ;   in Loop: Header=BB6_281 Depth=1
	global_load_dwordx2 v[22:23], v28, s[4:5]
.LBB6_336:                              ;   in Loop: Header=BB6_281 Depth=1
	v_readfirstlane_b32 s4, v32
	s_waitcnt vmcnt(0)
	v_mov_b32_e32 v4, 0
	v_mov_b32_e32 v5, 0
	v_cmp_eq_u32_e64 s[4:5], s4, v32
	s_and_saveexec_b64 s[24:25], s[4:5]
	s_cbranch_execz .LBB6_342
; %bb.337:                              ;   in Loop: Header=BB6_281 Depth=1
	global_load_dwordx2 v[26:27], v28, s[6:7] offset:24 glc
	s_waitcnt vmcnt(0)
	buffer_wbinvl1_vol
	global_load_dwordx2 v[4:5], v28, s[6:7] offset:40
	global_load_dwordx2 v[8:9], v28, s[6:7]
	s_waitcnt vmcnt(1)
	v_and_b32_e32 v4, v4, v26
	v_and_b32_e32 v5, v5, v27
	v_mul_lo_u32 v5, v5, 24
	v_mul_hi_u32 v24, v4, 24
	v_mul_lo_u32 v4, v4, 24
	v_add_u32_e32 v5, v24, v5
	s_waitcnt vmcnt(0)
	v_add_co_u32_e32 v4, vcc, v8, v4
	v_addc_co_u32_e32 v5, vcc, v9, v5, vcc
	global_load_dwordx2 v[24:25], v[4:5], off glc
	s_waitcnt vmcnt(0)
	global_atomic_cmpswap_x2 v[4:5], v28, v[24:27], s[6:7] offset:24 glc
	s_waitcnt vmcnt(0)
	buffer_wbinvl1_vol
	v_cmp_ne_u64_e32 vcc, v[4:5], v[26:27]
	s_and_saveexec_b64 s[26:27], vcc
	s_cbranch_execz .LBB6_341
; %bb.338:                              ;   in Loop: Header=BB6_281 Depth=1
	s_mov_b64 s[28:29], 0
.LBB6_339:                              ;   Parent Loop BB6_281 Depth=1
                                        ; =>  This Inner Loop Header: Depth=2
	s_sleep 1
	global_load_dwordx2 v[8:9], v28, s[6:7] offset:40
	global_load_dwordx2 v[24:25], v28, s[6:7]
	v_mov_b32_e32 v27, v5
	v_mov_b32_e32 v26, v4
	s_waitcnt vmcnt(1)
	v_and_b32_e32 v4, v8, v26
	s_waitcnt vmcnt(0)
	v_mad_u64_u32 v[4:5], vcc, v4, 24, v[24:25]
	v_and_b32_e32 v8, v9, v27
	v_mad_u64_u32 v[8:9], vcc, v8, 24, v[5:6]
	v_mov_b32_e32 v5, v8
	global_load_dwordx2 v[24:25], v[4:5], off glc
	s_waitcnt vmcnt(0)
	global_atomic_cmpswap_x2 v[4:5], v28, v[24:27], s[6:7] offset:24 glc
	s_waitcnt vmcnt(0)
	buffer_wbinvl1_vol
	v_cmp_eq_u64_e32 vcc, v[4:5], v[26:27]
	s_or_b64 s[28:29], vcc, s[28:29]
	s_andn2_b64 exec, exec, s[28:29]
	s_cbranch_execnz .LBB6_339
; %bb.340:                              ;   in Loop: Header=BB6_281 Depth=1
	s_or_b64 exec, exec, s[28:29]
.LBB6_341:                              ;   in Loop: Header=BB6_281 Depth=1
	s_or_b64 exec, exec, s[26:27]
.LBB6_342:                              ;   in Loop: Header=BB6_281 Depth=1
	s_or_b64 exec, exec, s[24:25]
	global_load_dwordx2 v[8:9], v28, s[6:7] offset:40
	global_load_dwordx4 v[24:27], v28, s[6:7]
	v_readfirstlane_b32 s24, v4
	v_readfirstlane_b32 s25, v5
	s_mov_b64 s[26:27], exec
	s_waitcnt vmcnt(1)
	v_readfirstlane_b32 s28, v8
	v_readfirstlane_b32 s29, v9
	s_and_b64 s[28:29], s[24:25], s[28:29]
	s_mul_i32 s15, s29, 24
	s_mul_hi_u32 vcc_lo, s28, 24
	s_mul_i32 vcc_hi, s28, 24
	s_add_i32 s15, vcc_lo, s15
	v_mov_b32_e32 v4, s15
	s_waitcnt vmcnt(0)
	v_add_co_u32_e32 v29, vcc, vcc_hi, v24
	v_addc_co_u32_e32 v30, vcc, v25, v4, vcc
	s_and_saveexec_b64 vcc, s[4:5]
	s_cbranch_execz .LBB6_344
; %bb.343:                              ;   in Loop: Header=BB6_281 Depth=1
	v_mov_b32_e32 v4, s26
	v_mov_b32_e32 v5, s27
	global_store_dwordx4 v[29:30], v[4:7], off offset:8
.LBB6_344:                              ;   in Loop: Header=BB6_281 Depth=1
	s_or_b64 exec, exec, vcc
	s_lshl_b64 s[26:27], s[28:29], 12
	v_mov_b32_e32 v4, s27
	v_add_co_u32_e32 v26, vcc, s26, v26
	v_addc_co_u32_e32 v34, vcc, v27, v4, vcc
	v_cmp_gt_u64_e64 vcc, s[20:21], 56
	v_or_b32_e32 v5, v2, v33
	s_lshl_b32 s15, s22, 2
	v_cndmask_b32_e32 v2, v5, v2, vcc
	s_add_i32 s15, s15, 28
	v_or_b32_e32 v4, 0, v3
	s_and_b32 s15, s15, 0x1e0
	v_and_b32_e32 v2, 0xffffff1f, v2
	v_cndmask_b32_e32 v9, v4, v3, vcc
	v_or_b32_e32 v8, s15, v2
	v_readfirstlane_b32 s26, v26
	v_readfirstlane_b32 s27, v34
	s_nop 4
	global_store_dwordx4 v31, v[8:11], s[26:27]
	global_store_dwordx4 v31, v[12:15], s[26:27] offset:16
	global_store_dwordx4 v31, v[16:19], s[26:27] offset:32
	global_store_dwordx4 v31, v[20:23], s[26:27] offset:48
	s_and_saveexec_b64 s[26:27], s[4:5]
	s_cbranch_execz .LBB6_352
; %bb.345:                              ;   in Loop: Header=BB6_281 Depth=1
	global_load_dwordx2 v[12:13], v28, s[6:7] offset:32 glc
	global_load_dwordx2 v[2:3], v28, s[6:7] offset:40
	v_mov_b32_e32 v10, s24
	v_mov_b32_e32 v11, s25
	s_waitcnt vmcnt(0)
	v_readfirstlane_b32 s28, v2
	v_readfirstlane_b32 s29, v3
	s_and_b64 s[28:29], s[28:29], s[24:25]
	s_mul_i32 s15, s29, 24
	s_mul_hi_u32 s29, s28, 24
	s_mul_i32 s28, s28, 24
	s_add_i32 s15, s29, s15
	v_mov_b32_e32 v2, s15
	v_add_co_u32_e32 v8, vcc, s28, v24
	v_addc_co_u32_e32 v9, vcc, v25, v2, vcc
	global_store_dwordx2 v[8:9], v[12:13], off
	s_waitcnt vmcnt(0)
	global_atomic_cmpswap_x2 v[4:5], v28, v[10:13], s[6:7] offset:32 glc
	s_waitcnt vmcnt(0)
	v_cmp_ne_u64_e32 vcc, v[4:5], v[12:13]
	s_and_saveexec_b64 s[28:29], vcc
	s_cbranch_execz .LBB6_348
; %bb.346:                              ;   in Loop: Header=BB6_281 Depth=1
	s_mov_b64 s[30:31], 0
.LBB6_347:                              ;   Parent Loop BB6_281 Depth=1
                                        ; =>  This Inner Loop Header: Depth=2
	s_sleep 1
	global_store_dwordx2 v[8:9], v[4:5], off
	v_mov_b32_e32 v2, s24
	v_mov_b32_e32 v3, s25
	s_waitcnt vmcnt(0)
	global_atomic_cmpswap_x2 v[2:3], v28, v[2:5], s[6:7] offset:32 glc
	s_waitcnt vmcnt(0)
	v_cmp_eq_u64_e32 vcc, v[2:3], v[4:5]
	v_mov_b32_e32 v5, v3
	s_or_b64 s[30:31], vcc, s[30:31]
	v_mov_b32_e32 v4, v2
	s_andn2_b64 exec, exec, s[30:31]
	s_cbranch_execnz .LBB6_347
.LBB6_348:                              ;   in Loop: Header=BB6_281 Depth=1
	s_or_b64 exec, exec, s[28:29]
	global_load_dwordx2 v[2:3], v28, s[6:7] offset:16
	s_mov_b64 s[30:31], exec
	v_mbcnt_lo_u32_b32 v4, s30, 0
	v_mbcnt_hi_u32_b32 v4, s31, v4
	v_cmp_eq_u32_e32 vcc, 0, v4
	s_and_saveexec_b64 s[28:29], vcc
	s_cbranch_execz .LBB6_350
; %bb.349:                              ;   in Loop: Header=BB6_281 Depth=1
	s_bcnt1_i32_b64 s15, s[30:31]
	v_mov_b32_e32 v27, s15
	s_waitcnt vmcnt(0)
	global_atomic_add_x2 v[2:3], v[27:28], off offset:8
.LBB6_350:                              ;   in Loop: Header=BB6_281 Depth=1
	s_or_b64 exec, exec, s[28:29]
	s_waitcnt vmcnt(0)
	global_load_dwordx2 v[4:5], v[2:3], off offset:16
	s_waitcnt vmcnt(0)
	v_cmp_eq_u64_e32 vcc, 0, v[4:5]
	s_cbranch_vccnz .LBB6_352
; %bb.351:                              ;   in Loop: Header=BB6_281 Depth=1
	global_load_dword v27, v[2:3], off offset:24
	s_waitcnt vmcnt(0)
	v_and_b32_e32 v2, 0xffffff, v27
	v_readfirstlane_b32 m0, v2
	global_store_dwordx2 v[4:5], v[27:28], off
	s_sendmsg sendmsg(MSG_INTERRUPT)
.LBB6_352:                              ;   in Loop: Header=BB6_281 Depth=1
	s_or_b64 exec, exec, s[26:27]
	v_add_co_u32_e32 v2, vcc, v26, v31
	v_addc_co_u32_e32 v3, vcc, 0, v34, vcc
	s_branch .LBB6_356
.LBB6_353:                              ;   in Loop: Header=BB6_356 Depth=2
	s_or_b64 exec, exec, s[26:27]
	v_readfirstlane_b32 s15, v4
	s_cmp_eq_u32 s15, 0
	s_cbranch_scc1 .LBB6_355
; %bb.354:                              ;   in Loop: Header=BB6_356 Depth=2
	s_sleep 1
	s_cbranch_execnz .LBB6_356
	s_branch .LBB6_358
.LBB6_355:                              ;   in Loop: Header=BB6_281 Depth=1
	s_branch .LBB6_358
.LBB6_356:                              ;   Parent Loop BB6_281 Depth=1
                                        ; =>  This Inner Loop Header: Depth=2
	v_mov_b32_e32 v4, 1
	s_and_saveexec_b64 s[26:27], s[4:5]
	s_cbranch_execz .LBB6_353
; %bb.357:                              ;   in Loop: Header=BB6_356 Depth=2
	global_load_dword v4, v[29:30], off offset:20 glc
	s_waitcnt vmcnt(0)
	buffer_wbinvl1_vol
	v_and_b32_e32 v4, 1, v4
	s_branch .LBB6_353
.LBB6_358:                              ;   in Loop: Header=BB6_281 Depth=1
	global_load_dwordx4 v[2:5], v[2:3], off
	s_and_saveexec_b64 s[26:27], s[4:5]
	s_cbranch_execz .LBB6_280
; %bb.359:                              ;   in Loop: Header=BB6_281 Depth=1
	global_load_dwordx2 v[4:5], v28, s[6:7] offset:40
	global_load_dwordx2 v[12:13], v28, s[6:7] offset:24 glc
	global_load_dwordx2 v[14:15], v28, s[6:7]
	v_mov_b32_e32 v9, s25
	s_waitcnt vmcnt(2)
	v_add_co_u32_e32 v10, vcc, 1, v4
	v_addc_co_u32_e32 v11, vcc, 0, v5, vcc
	v_add_co_u32_e32 v8, vcc, s24, v10
	v_addc_co_u32_e32 v9, vcc, v11, v9, vcc
	v_cmp_eq_u64_e32 vcc, 0, v[8:9]
	v_cndmask_b32_e32 v9, v9, v11, vcc
	v_cndmask_b32_e32 v8, v8, v10, vcc
	v_and_b32_e32 v5, v9, v5
	v_and_b32_e32 v4, v8, v4
	v_mul_lo_u32 v5, v5, 24
	v_mul_hi_u32 v11, v4, 24
	v_mul_lo_u32 v4, v4, 24
	s_waitcnt vmcnt(1)
	v_mov_b32_e32 v10, v12
	v_add_u32_e32 v5, v11, v5
	s_waitcnt vmcnt(0)
	v_add_co_u32_e32 v4, vcc, v14, v4
	v_addc_co_u32_e32 v5, vcc, v15, v5, vcc
	global_store_dwordx2 v[4:5], v[12:13], off
	v_mov_b32_e32 v11, v13
	s_waitcnt vmcnt(0)
	global_atomic_cmpswap_x2 v[10:11], v28, v[8:11], s[6:7] offset:24 glc
	s_waitcnt vmcnt(0)
	v_cmp_ne_u64_e32 vcc, v[10:11], v[12:13]
	s_and_b64 exec, exec, vcc
	s_cbranch_execz .LBB6_280
; %bb.360:                              ;   in Loop: Header=BB6_281 Depth=1
	s_mov_b64 s[4:5], 0
.LBB6_361:                              ;   Parent Loop BB6_281 Depth=1
                                        ; =>  This Inner Loop Header: Depth=2
	s_sleep 1
	global_store_dwordx2 v[4:5], v[10:11], off
	s_waitcnt vmcnt(0)
	global_atomic_cmpswap_x2 v[12:13], v28, v[8:11], s[6:7] offset:24 glc
	s_waitcnt vmcnt(0)
	v_cmp_eq_u64_e32 vcc, v[12:13], v[10:11]
	v_mov_b32_e32 v10, v12
	s_or_b64 s[4:5], vcc, s[4:5]
	v_mov_b32_e32 v11, v13
	s_andn2_b64 exec, exec, s[4:5]
	s_cbranch_execnz .LBB6_361
	s_branch .LBB6_280
.LBB6_362:
	s_branch .LBB6_390
.LBB6_363:
                                        ; implicit-def: $vgpr2_vgpr3
	s_cbranch_execz .LBB6_390
; %bb.364:
	v_readfirstlane_b32 s4, v32
	v_mov_b32_e32 v8, 0
	v_mov_b32_e32 v9, 0
	v_cmp_eq_u32_e64 s[4:5], s4, v32
	s_and_saveexec_b64 s[18:19], s[4:5]
	s_cbranch_execz .LBB6_370
; %bb.365:
	s_waitcnt vmcnt(0)
	v_mov_b32_e32 v2, 0
	global_load_dwordx2 v[5:6], v2, s[6:7] offset:24 glc
	s_waitcnt vmcnt(0)
	buffer_wbinvl1_vol
	global_load_dwordx2 v[3:4], v2, s[6:7] offset:40
	global_load_dwordx2 v[7:8], v2, s[6:7]
	s_waitcnt vmcnt(1)
	v_and_b32_e32 v3, v3, v5
	v_and_b32_e32 v4, v4, v6
	v_mul_lo_u32 v4, v4, 24
	v_mul_hi_u32 v9, v3, 24
	v_mul_lo_u32 v3, v3, 24
	v_add_u32_e32 v4, v9, v4
	s_waitcnt vmcnt(0)
	v_add_co_u32_e32 v3, vcc, v7, v3
	v_addc_co_u32_e32 v4, vcc, v8, v4, vcc
	global_load_dwordx2 v[3:4], v[3:4], off glc
	s_waitcnt vmcnt(0)
	global_atomic_cmpswap_x2 v[8:9], v2, v[3:6], s[6:7] offset:24 glc
	s_waitcnt vmcnt(0)
	buffer_wbinvl1_vol
	v_cmp_ne_u64_e32 vcc, v[8:9], v[5:6]
	s_and_saveexec_b64 s[20:21], vcc
	s_cbranch_execz .LBB6_369
; %bb.366:
	s_mov_b64 s[22:23], 0
.LBB6_367:                              ; =>This Inner Loop Header: Depth=1
	s_sleep 1
	global_load_dwordx2 v[3:4], v2, s[6:7] offset:40
	global_load_dwordx2 v[10:11], v2, s[6:7]
	v_mov_b32_e32 v5, v8
	v_mov_b32_e32 v6, v9
	s_waitcnt vmcnt(1)
	v_and_b32_e32 v3, v3, v5
	s_waitcnt vmcnt(0)
	v_mad_u64_u32 v[7:8], s[24:25], v3, 24, v[10:11]
	v_and_b32_e32 v4, v4, v6
	v_mov_b32_e32 v3, v8
	v_mad_u64_u32 v[3:4], s[24:25], v4, 24, v[3:4]
	v_mov_b32_e32 v8, v3
	global_load_dwordx2 v[3:4], v[7:8], off glc
	s_waitcnt vmcnt(0)
	global_atomic_cmpswap_x2 v[8:9], v2, v[3:6], s[6:7] offset:24 glc
	s_waitcnt vmcnt(0)
	buffer_wbinvl1_vol
	v_cmp_eq_u64_e32 vcc, v[8:9], v[5:6]
	s_or_b64 s[22:23], vcc, s[22:23]
	s_andn2_b64 exec, exec, s[22:23]
	s_cbranch_execnz .LBB6_367
; %bb.368:
	s_or_b64 exec, exec, s[22:23]
.LBB6_369:
	s_or_b64 exec, exec, s[20:21]
.LBB6_370:
	s_or_b64 exec, exec, s[18:19]
	s_waitcnt vmcnt(0)
	v_mov_b32_e32 v2, 0
	global_load_dwordx2 v[10:11], v2, s[6:7] offset:40
	global_load_dwordx4 v[4:7], v2, s[6:7]
	v_readfirstlane_b32 s18, v8
	v_readfirstlane_b32 s19, v9
	s_mov_b64 s[20:21], exec
	s_waitcnt vmcnt(1)
	v_readfirstlane_b32 s22, v10
	v_readfirstlane_b32 s23, v11
	s_and_b64 s[22:23], s[18:19], s[22:23]
	s_mul_i32 s15, s23, 24
	s_mul_hi_u32 s24, s22, 24
	s_mul_i32 s25, s22, 24
	s_add_i32 s15, s24, s15
	v_mov_b32_e32 v3, s15
	s_waitcnt vmcnt(0)
	v_add_co_u32_e32 v8, vcc, s25, v4
	v_addc_co_u32_e32 v9, vcc, v5, v3, vcc
	s_and_saveexec_b64 s[24:25], s[4:5]
	s_cbranch_execz .LBB6_372
; %bb.371:
	v_mov_b32_e32 v10, s20
	v_mov_b32_e32 v11, s21
	;; [unrolled: 1-line block ×4, first 2 shown]
	global_store_dwordx4 v[8:9], v[10:13], off offset:8
.LBB6_372:
	s_or_b64 exec, exec, s[24:25]
	s_lshl_b64 s[20:21], s[22:23], 12
	v_mov_b32_e32 v3, s21
	v_add_co_u32_e32 v10, vcc, s20, v6
	v_addc_co_u32_e32 v11, vcc, v7, v3, vcc
	s_movk_i32 s15, 0xff1f
	v_and_or_b32 v0, v0, s15, 32
	s_mov_b32 s20, 0
	v_mov_b32_e32 v3, v2
	v_readfirstlane_b32 s24, v10
	v_readfirstlane_b32 s25, v11
	v_add_co_u32_e32 v6, vcc, v10, v31
	s_mov_b32 s21, s20
	s_mov_b32 s22, s20
	;; [unrolled: 1-line block ×3, first 2 shown]
	s_nop 0
	global_store_dwordx4 v31, v[0:3], s[24:25]
	v_addc_co_u32_e32 v7, vcc, 0, v11, vcc
	v_mov_b32_e32 v0, s20
	v_mov_b32_e32 v1, s21
	;; [unrolled: 1-line block ×4, first 2 shown]
	global_store_dwordx4 v31, v[0:3], s[24:25] offset:16
	global_store_dwordx4 v31, v[0:3], s[24:25] offset:32
	;; [unrolled: 1-line block ×3, first 2 shown]
	s_and_saveexec_b64 s[20:21], s[4:5]
	s_cbranch_execz .LBB6_380
; %bb.373:
	v_mov_b32_e32 v10, 0
	global_load_dwordx2 v[13:14], v10, s[6:7] offset:32 glc
	global_load_dwordx2 v[0:1], v10, s[6:7] offset:40
	v_mov_b32_e32 v11, s18
	v_mov_b32_e32 v12, s19
	s_waitcnt vmcnt(0)
	v_readfirstlane_b32 s22, v0
	v_readfirstlane_b32 s23, v1
	s_and_b64 s[22:23], s[22:23], s[18:19]
	s_mul_i32 s15, s23, 24
	s_mul_hi_u32 s23, s22, 24
	s_mul_i32 s22, s22, 24
	s_add_i32 s15, s23, s15
	v_mov_b32_e32 v0, s15
	v_add_co_u32_e32 v4, vcc, s22, v4
	v_addc_co_u32_e32 v5, vcc, v5, v0, vcc
	global_store_dwordx2 v[4:5], v[13:14], off
	s_waitcnt vmcnt(0)
	global_atomic_cmpswap_x2 v[2:3], v10, v[11:14], s[6:7] offset:32 glc
	s_waitcnt vmcnt(0)
	v_cmp_ne_u64_e32 vcc, v[2:3], v[13:14]
	s_and_saveexec_b64 s[22:23], vcc
	s_cbranch_execz .LBB6_376
; %bb.374:
	s_mov_b64 s[24:25], 0
.LBB6_375:                              ; =>This Inner Loop Header: Depth=1
	s_sleep 1
	global_store_dwordx2 v[4:5], v[2:3], off
	v_mov_b32_e32 v0, s18
	v_mov_b32_e32 v1, s19
	s_waitcnt vmcnt(0)
	global_atomic_cmpswap_x2 v[0:1], v10, v[0:3], s[6:7] offset:32 glc
	s_waitcnt vmcnt(0)
	v_cmp_eq_u64_e32 vcc, v[0:1], v[2:3]
	v_mov_b32_e32 v3, v1
	s_or_b64 s[24:25], vcc, s[24:25]
	v_mov_b32_e32 v2, v0
	s_andn2_b64 exec, exec, s[24:25]
	s_cbranch_execnz .LBB6_375
.LBB6_376:
	s_or_b64 exec, exec, s[22:23]
	v_mov_b32_e32 v3, 0
	global_load_dwordx2 v[0:1], v3, s[6:7] offset:16
	s_mov_b64 s[22:23], exec
	v_mbcnt_lo_u32_b32 v2, s22, 0
	v_mbcnt_hi_u32_b32 v2, s23, v2
	v_cmp_eq_u32_e32 vcc, 0, v2
	s_and_saveexec_b64 s[24:25], vcc
	s_cbranch_execz .LBB6_378
; %bb.377:
	s_bcnt1_i32_b64 s15, s[22:23]
	v_mov_b32_e32 v2, s15
	s_waitcnt vmcnt(0)
	global_atomic_add_x2 v[0:1], v[2:3], off offset:8
.LBB6_378:
	s_or_b64 exec, exec, s[24:25]
	s_waitcnt vmcnt(0)
	global_load_dwordx2 v[2:3], v[0:1], off offset:16
	s_waitcnt vmcnt(0)
	v_cmp_eq_u64_e32 vcc, 0, v[2:3]
	s_cbranch_vccnz .LBB6_380
; %bb.379:
	global_load_dword v0, v[0:1], off offset:24
	v_mov_b32_e32 v1, 0
	s_waitcnt vmcnt(0)
	global_store_dwordx2 v[2:3], v[0:1], off
	v_and_b32_e32 v0, 0xffffff, v0
	v_readfirstlane_b32 m0, v0
	s_sendmsg sendmsg(MSG_INTERRUPT)
.LBB6_380:
	s_or_b64 exec, exec, s[20:21]
	s_branch .LBB6_384
.LBB6_381:                              ;   in Loop: Header=BB6_384 Depth=1
	s_or_b64 exec, exec, s[20:21]
	v_readfirstlane_b32 s15, v0
	s_cmp_eq_u32 s15, 0
	s_cbranch_scc1 .LBB6_383
; %bb.382:                              ;   in Loop: Header=BB6_384 Depth=1
	s_sleep 1
	s_cbranch_execnz .LBB6_384
	s_branch .LBB6_386
.LBB6_383:
	s_branch .LBB6_386
.LBB6_384:                              ; =>This Inner Loop Header: Depth=1
	v_mov_b32_e32 v0, 1
	s_and_saveexec_b64 s[20:21], s[4:5]
	s_cbranch_execz .LBB6_381
; %bb.385:                              ;   in Loop: Header=BB6_384 Depth=1
	global_load_dword v0, v[8:9], off offset:20 glc
	s_waitcnt vmcnt(0)
	buffer_wbinvl1_vol
	v_and_b32_e32 v0, 1, v0
	s_branch .LBB6_381
.LBB6_386:
	global_load_dwordx2 v[2:3], v[6:7], off
	s_and_saveexec_b64 s[20:21], s[4:5]
	s_cbranch_execz .LBB6_389
; %bb.387:
	v_mov_b32_e32 v8, 0
	global_load_dwordx2 v[0:1], v8, s[6:7] offset:40
	global_load_dwordx2 v[9:10], v8, s[6:7] offset:24 glc
	global_load_dwordx2 v[11:12], v8, s[6:7]
	v_mov_b32_e32 v5, s19
	s_mov_b64 s[4:5], 0
	s_waitcnt vmcnt(2)
	v_add_co_u32_e32 v6, vcc, 1, v0
	v_addc_co_u32_e32 v7, vcc, 0, v1, vcc
	v_add_co_u32_e32 v4, vcc, s18, v6
	v_addc_co_u32_e32 v5, vcc, v7, v5, vcc
	v_cmp_eq_u64_e32 vcc, 0, v[4:5]
	v_cndmask_b32_e32 v5, v5, v7, vcc
	v_cndmask_b32_e32 v4, v4, v6, vcc
	v_and_b32_e32 v1, v5, v1
	v_and_b32_e32 v0, v4, v0
	v_mul_lo_u32 v1, v1, 24
	v_mul_hi_u32 v7, v0, 24
	v_mul_lo_u32 v0, v0, 24
	s_waitcnt vmcnt(1)
	v_mov_b32_e32 v6, v9
	v_add_u32_e32 v1, v7, v1
	s_waitcnt vmcnt(0)
	v_add_co_u32_e32 v0, vcc, v11, v0
	v_addc_co_u32_e32 v1, vcc, v12, v1, vcc
	global_store_dwordx2 v[0:1], v[9:10], off
	v_mov_b32_e32 v7, v10
	s_waitcnt vmcnt(0)
	global_atomic_cmpswap_x2 v[6:7], v8, v[4:7], s[6:7] offset:24 glc
	s_waitcnt vmcnt(0)
	v_cmp_ne_u64_e32 vcc, v[6:7], v[9:10]
	s_and_b64 exec, exec, vcc
	s_cbranch_execz .LBB6_389
.LBB6_388:                              ; =>This Inner Loop Header: Depth=1
	s_sleep 1
	global_store_dwordx2 v[0:1], v[6:7], off
	s_waitcnt vmcnt(0)
	global_atomic_cmpswap_x2 v[9:10], v8, v[4:7], s[6:7] offset:24 glc
	s_waitcnt vmcnt(0)
	v_cmp_eq_u64_e32 vcc, v[9:10], v[6:7]
	v_mov_b32_e32 v6, v9
	s_or_b64 s[4:5], vcc, s[4:5]
	v_mov_b32_e32 v7, v10
	s_andn2_b64 exec, exec, s[4:5]
	s_cbranch_execnz .LBB6_388
.LBB6_389:
	s_or_b64 exec, exec, s[20:21]
.LBB6_390:
	v_readfirstlane_b32 s4, v32
	s_waitcnt vmcnt(0)
	v_mov_b32_e32 v0, 0
	v_mov_b32_e32 v1, 0
	v_cmp_eq_u32_e64 s[4:5], s4, v32
	s_and_saveexec_b64 s[18:19], s[4:5]
	s_cbranch_execz .LBB6_396
; %bb.391:
	v_mov_b32_e32 v4, 0
	global_load_dwordx2 v[7:8], v4, s[6:7] offset:24 glc
	s_waitcnt vmcnt(0)
	buffer_wbinvl1_vol
	global_load_dwordx2 v[0:1], v4, s[6:7] offset:40
	global_load_dwordx2 v[5:6], v4, s[6:7]
	s_waitcnt vmcnt(1)
	v_and_b32_e32 v0, v0, v7
	v_and_b32_e32 v1, v1, v8
	v_mul_lo_u32 v1, v1, 24
	v_mul_hi_u32 v9, v0, 24
	v_mul_lo_u32 v0, v0, 24
	v_add_u32_e32 v1, v9, v1
	s_waitcnt vmcnt(0)
	v_add_co_u32_e32 v0, vcc, v5, v0
	v_addc_co_u32_e32 v1, vcc, v6, v1, vcc
	global_load_dwordx2 v[5:6], v[0:1], off glc
	s_waitcnt vmcnt(0)
	global_atomic_cmpswap_x2 v[0:1], v4, v[5:8], s[6:7] offset:24 glc
	s_waitcnt vmcnt(0)
	buffer_wbinvl1_vol
	v_cmp_ne_u64_e32 vcc, v[0:1], v[7:8]
	s_and_saveexec_b64 s[20:21], vcc
	s_cbranch_execz .LBB6_395
; %bb.392:
	s_mov_b64 s[22:23], 0
.LBB6_393:                              ; =>This Inner Loop Header: Depth=1
	s_sleep 1
	global_load_dwordx2 v[5:6], v4, s[6:7] offset:40
	global_load_dwordx2 v[9:10], v4, s[6:7]
	v_mov_b32_e32 v8, v1
	v_mov_b32_e32 v7, v0
	s_waitcnt vmcnt(1)
	v_and_b32_e32 v0, v5, v7
	s_waitcnt vmcnt(0)
	v_mad_u64_u32 v[0:1], s[24:25], v0, 24, v[9:10]
	v_and_b32_e32 v5, v6, v8
	v_mad_u64_u32 v[5:6], s[24:25], v5, 24, v[1:2]
	v_mov_b32_e32 v1, v5
	global_load_dwordx2 v[5:6], v[0:1], off glc
	s_waitcnt vmcnt(0)
	global_atomic_cmpswap_x2 v[0:1], v4, v[5:8], s[6:7] offset:24 glc
	s_waitcnt vmcnt(0)
	buffer_wbinvl1_vol
	v_cmp_eq_u64_e32 vcc, v[0:1], v[7:8]
	s_or_b64 s[22:23], vcc, s[22:23]
	s_andn2_b64 exec, exec, s[22:23]
	s_cbranch_execnz .LBB6_393
; %bb.394:
	s_or_b64 exec, exec, s[22:23]
.LBB6_395:
	s_or_b64 exec, exec, s[20:21]
.LBB6_396:
	s_or_b64 exec, exec, s[18:19]
	v_mov_b32_e32 v5, 0
	global_load_dwordx2 v[10:11], v5, s[6:7] offset:40
	global_load_dwordx4 v[6:9], v5, s[6:7]
	v_readfirstlane_b32 s18, v0
	v_readfirstlane_b32 s19, v1
	s_mov_b64 s[20:21], exec
	s_waitcnt vmcnt(1)
	v_readfirstlane_b32 s22, v10
	v_readfirstlane_b32 s23, v11
	s_and_b64 s[22:23], s[18:19], s[22:23]
	s_mul_i32 s15, s23, 24
	s_mul_hi_u32 s24, s22, 24
	s_mul_i32 s25, s22, 24
	s_add_i32 s15, s24, s15
	v_mov_b32_e32 v0, s15
	s_waitcnt vmcnt(0)
	v_add_co_u32_e32 v10, vcc, s25, v6
	v_addc_co_u32_e32 v11, vcc, v7, v0, vcc
	s_and_saveexec_b64 s[24:25], s[4:5]
	s_cbranch_execz .LBB6_398
; %bb.397:
	v_mov_b32_e32 v12, s20
	v_mov_b32_e32 v13, s21
	;; [unrolled: 1-line block ×4, first 2 shown]
	global_store_dwordx4 v[10:11], v[12:15], off offset:8
.LBB6_398:
	s_or_b64 exec, exec, s[24:25]
	s_lshl_b64 s[20:21], s[22:23], 12
	v_mov_b32_e32 v0, s21
	v_add_co_u32_e32 v1, vcc, s20, v8
	v_addc_co_u32_e32 v0, vcc, v9, v0, vcc
	s_movk_i32 s15, 0xff1d
	v_and_or_b32 v2, v2, s15, 34
	s_mov_b32 s20, 0
	v_mov_b32_e32 v4, 10
	v_readfirstlane_b32 s24, v1
	v_readfirstlane_b32 s25, v0
	s_mov_b32 s21, s20
	s_mov_b32 s22, s20
	;; [unrolled: 1-line block ×3, first 2 shown]
	s_nop 1
	global_store_dwordx4 v31, v[2:5], s[24:25]
	v_mov_b32_e32 v0, s20
	v_mov_b32_e32 v1, s21
	;; [unrolled: 1-line block ×4, first 2 shown]
	global_store_dwordx4 v31, v[0:3], s[24:25] offset:16
	global_store_dwordx4 v31, v[0:3], s[24:25] offset:32
	;; [unrolled: 1-line block ×3, first 2 shown]
	s_and_saveexec_b64 s[20:21], s[4:5]
	s_cbranch_execz .LBB6_406
; %bb.399:
	v_mov_b32_e32 v8, 0
	global_load_dwordx2 v[14:15], v8, s[6:7] offset:32 glc
	global_load_dwordx2 v[0:1], v8, s[6:7] offset:40
	v_mov_b32_e32 v12, s18
	v_mov_b32_e32 v13, s19
	s_waitcnt vmcnt(0)
	v_readfirstlane_b32 s22, v0
	v_readfirstlane_b32 s23, v1
	s_and_b64 s[22:23], s[22:23], s[18:19]
	s_mul_i32 s15, s23, 24
	s_mul_hi_u32 s23, s22, 24
	s_mul_i32 s22, s22, 24
	s_add_i32 s15, s23, s15
	v_mov_b32_e32 v0, s15
	v_add_co_u32_e32 v4, vcc, s22, v6
	v_addc_co_u32_e32 v5, vcc, v7, v0, vcc
	global_store_dwordx2 v[4:5], v[14:15], off
	s_waitcnt vmcnt(0)
	global_atomic_cmpswap_x2 v[2:3], v8, v[12:15], s[6:7] offset:32 glc
	s_waitcnt vmcnt(0)
	v_cmp_ne_u64_e32 vcc, v[2:3], v[14:15]
	s_and_saveexec_b64 s[22:23], vcc
	s_cbranch_execz .LBB6_402
; %bb.400:
	s_mov_b64 s[24:25], 0
.LBB6_401:                              ; =>This Inner Loop Header: Depth=1
	s_sleep 1
	global_store_dwordx2 v[4:5], v[2:3], off
	v_mov_b32_e32 v0, s18
	v_mov_b32_e32 v1, s19
	s_waitcnt vmcnt(0)
	global_atomic_cmpswap_x2 v[0:1], v8, v[0:3], s[6:7] offset:32 glc
	s_waitcnt vmcnt(0)
	v_cmp_eq_u64_e32 vcc, v[0:1], v[2:3]
	v_mov_b32_e32 v3, v1
	s_or_b64 s[24:25], vcc, s[24:25]
	v_mov_b32_e32 v2, v0
	s_andn2_b64 exec, exec, s[24:25]
	s_cbranch_execnz .LBB6_401
.LBB6_402:
	s_or_b64 exec, exec, s[22:23]
	v_mov_b32_e32 v3, 0
	global_load_dwordx2 v[0:1], v3, s[6:7] offset:16
	s_mov_b64 s[22:23], exec
	v_mbcnt_lo_u32_b32 v2, s22, 0
	v_mbcnt_hi_u32_b32 v2, s23, v2
	v_cmp_eq_u32_e32 vcc, 0, v2
	s_and_saveexec_b64 s[24:25], vcc
	s_cbranch_execz .LBB6_404
; %bb.403:
	s_bcnt1_i32_b64 s15, s[22:23]
	v_mov_b32_e32 v2, s15
	s_waitcnt vmcnt(0)
	global_atomic_add_x2 v[0:1], v[2:3], off offset:8
.LBB6_404:
	s_or_b64 exec, exec, s[24:25]
	s_waitcnt vmcnt(0)
	global_load_dwordx2 v[2:3], v[0:1], off offset:16
	s_waitcnt vmcnt(0)
	v_cmp_eq_u64_e32 vcc, 0, v[2:3]
	s_cbranch_vccnz .LBB6_406
; %bb.405:
	global_load_dword v0, v[0:1], off offset:24
	v_mov_b32_e32 v1, 0
	s_waitcnt vmcnt(0)
	global_store_dwordx2 v[2:3], v[0:1], off
	v_and_b32_e32 v0, 0xffffff, v0
	v_readfirstlane_b32 m0, v0
	s_sendmsg sendmsg(MSG_INTERRUPT)
.LBB6_406:
	s_or_b64 exec, exec, s[20:21]
	s_branch .LBB6_410
.LBB6_407:                              ;   in Loop: Header=BB6_410 Depth=1
	s_or_b64 exec, exec, s[20:21]
	v_readfirstlane_b32 s15, v0
	s_cmp_eq_u32 s15, 0
	s_cbranch_scc1 .LBB6_409
; %bb.408:                              ;   in Loop: Header=BB6_410 Depth=1
	s_sleep 1
	s_cbranch_execnz .LBB6_410
	s_branch .LBB6_412
.LBB6_409:
	s_branch .LBB6_412
.LBB6_410:                              ; =>This Inner Loop Header: Depth=1
	v_mov_b32_e32 v0, 1
	s_and_saveexec_b64 s[20:21], s[4:5]
	s_cbranch_execz .LBB6_407
; %bb.411:                              ;   in Loop: Header=BB6_410 Depth=1
	global_load_dword v0, v[10:11], off offset:20 glc
	s_waitcnt vmcnt(0)
	buffer_wbinvl1_vol
	v_and_b32_e32 v0, 1, v0
	s_branch .LBB6_407
.LBB6_412:
	s_and_saveexec_b64 s[20:21], s[4:5]
	s_cbranch_execz .LBB6_415
; %bb.413:
	v_mov_b32_e32 v6, 0
	global_load_dwordx2 v[2:3], v6, s[6:7] offset:40
	global_load_dwordx2 v[7:8], v6, s[6:7] offset:24 glc
	global_load_dwordx2 v[4:5], v6, s[6:7]
	v_mov_b32_e32 v1, s19
	s_mov_b64 s[4:5], 0
	s_waitcnt vmcnt(2)
	v_add_co_u32_e32 v9, vcc, 1, v2
	v_addc_co_u32_e32 v10, vcc, 0, v3, vcc
	v_add_co_u32_e32 v0, vcc, s18, v9
	v_addc_co_u32_e32 v1, vcc, v10, v1, vcc
	v_cmp_eq_u64_e32 vcc, 0, v[0:1]
	v_cndmask_b32_e32 v1, v1, v10, vcc
	v_cndmask_b32_e32 v0, v0, v9, vcc
	v_and_b32_e32 v3, v1, v3
	v_and_b32_e32 v2, v0, v2
	v_mul_lo_u32 v3, v3, 24
	v_mul_hi_u32 v9, v2, 24
	v_mul_lo_u32 v10, v2, 24
	s_waitcnt vmcnt(1)
	v_mov_b32_e32 v2, v7
	v_add_u32_e32 v3, v9, v3
	s_waitcnt vmcnt(0)
	v_add_co_u32_e32 v4, vcc, v4, v10
	v_addc_co_u32_e32 v5, vcc, v5, v3, vcc
	global_store_dwordx2 v[4:5], v[7:8], off
	v_mov_b32_e32 v3, v8
	s_waitcnt vmcnt(0)
	global_atomic_cmpswap_x2 v[2:3], v6, v[0:3], s[6:7] offset:24 glc
	s_waitcnt vmcnt(0)
	v_cmp_ne_u64_e32 vcc, v[2:3], v[7:8]
	s_and_b64 exec, exec, vcc
	s_cbranch_execz .LBB6_415
.LBB6_414:                              ; =>This Inner Loop Header: Depth=1
	s_sleep 1
	global_store_dwordx2 v[4:5], v[2:3], off
	s_waitcnt vmcnt(0)
	global_atomic_cmpswap_x2 v[7:8], v6, v[0:3], s[6:7] offset:24 glc
	s_waitcnt vmcnt(0)
	v_cmp_eq_u64_e32 vcc, v[7:8], v[2:3]
	v_mov_b32_e32 v2, v7
	s_or_b64 s[4:5], vcc, s[4:5]
	v_mov_b32_e32 v3, v8
	s_andn2_b64 exec, exec, s[4:5]
	s_cbranch_execnz .LBB6_414
.LBB6_415:
	s_or_b64 exec, exec, s[20:21]
	v_readfirstlane_b32 s4, v32
	v_mov_b32_e32 v5, 0
	v_mov_b32_e32 v6, 0
	v_cmp_eq_u32_e64 s[4:5], s4, v32
	s_and_saveexec_b64 s[18:19], s[4:5]
	s_cbranch_execz .LBB6_421
; %bb.416:
	v_mov_b32_e32 v0, 0
	global_load_dwordx2 v[3:4], v0, s[6:7] offset:24 glc
	s_waitcnt vmcnt(0)
	buffer_wbinvl1_vol
	global_load_dwordx2 v[1:2], v0, s[6:7] offset:40
	global_load_dwordx2 v[5:6], v0, s[6:7]
	s_waitcnt vmcnt(1)
	v_and_b32_e32 v1, v1, v3
	v_and_b32_e32 v2, v2, v4
	v_mul_lo_u32 v2, v2, 24
	v_mul_hi_u32 v7, v1, 24
	v_mul_lo_u32 v1, v1, 24
	v_add_u32_e32 v2, v7, v2
	s_waitcnt vmcnt(0)
	v_add_co_u32_e32 v1, vcc, v5, v1
	v_addc_co_u32_e32 v2, vcc, v6, v2, vcc
	global_load_dwordx2 v[1:2], v[1:2], off glc
	s_waitcnt vmcnt(0)
	global_atomic_cmpswap_x2 v[5:6], v0, v[1:4], s[6:7] offset:24 glc
	s_waitcnt vmcnt(0)
	buffer_wbinvl1_vol
	v_cmp_ne_u64_e32 vcc, v[5:6], v[3:4]
	s_and_saveexec_b64 s[20:21], vcc
	s_cbranch_execz .LBB6_420
; %bb.417:
	s_mov_b64 s[22:23], 0
.LBB6_418:                              ; =>This Inner Loop Header: Depth=1
	s_sleep 1
	global_load_dwordx2 v[1:2], v0, s[6:7] offset:40
	global_load_dwordx2 v[7:8], v0, s[6:7]
	v_mov_b32_e32 v3, v5
	v_mov_b32_e32 v4, v6
	s_waitcnt vmcnt(1)
	v_and_b32_e32 v1, v1, v3
	s_waitcnt vmcnt(0)
	v_mad_u64_u32 v[5:6], s[24:25], v1, 24, v[7:8]
	v_and_b32_e32 v2, v2, v4
	v_mov_b32_e32 v1, v6
	v_mad_u64_u32 v[1:2], s[24:25], v2, 24, v[1:2]
	v_mov_b32_e32 v6, v1
	global_load_dwordx2 v[1:2], v[5:6], off glc
	s_waitcnt vmcnt(0)
	global_atomic_cmpswap_x2 v[5:6], v0, v[1:4], s[6:7] offset:24 glc
	s_waitcnt vmcnt(0)
	buffer_wbinvl1_vol
	v_cmp_eq_u64_e32 vcc, v[5:6], v[3:4]
	s_or_b64 s[22:23], vcc, s[22:23]
	s_andn2_b64 exec, exec, s[22:23]
	s_cbranch_execnz .LBB6_418
; %bb.419:
	s_or_b64 exec, exec, s[22:23]
.LBB6_420:
	s_or_b64 exec, exec, s[20:21]
.LBB6_421:
	s_or_b64 exec, exec, s[18:19]
	v_mov_b32_e32 v4, 0
	global_load_dwordx2 v[7:8], v4, s[6:7] offset:40
	global_load_dwordx4 v[0:3], v4, s[6:7]
	v_readfirstlane_b32 s18, v5
	v_readfirstlane_b32 s19, v6
	s_mov_b64 s[20:21], exec
	s_waitcnt vmcnt(1)
	v_readfirstlane_b32 s22, v7
	v_readfirstlane_b32 s23, v8
	s_and_b64 s[22:23], s[18:19], s[22:23]
	s_mul_i32 s15, s23, 24
	s_mul_hi_u32 s24, s22, 24
	s_mul_i32 s25, s22, 24
	s_add_i32 s15, s24, s15
	v_mov_b32_e32 v5, s15
	s_waitcnt vmcnt(0)
	v_add_co_u32_e32 v7, vcc, s25, v0
	v_addc_co_u32_e32 v8, vcc, v1, v5, vcc
	s_and_saveexec_b64 s[24:25], s[4:5]
	s_cbranch_execz .LBB6_423
; %bb.422:
	v_mov_b32_e32 v9, s20
	v_mov_b32_e32 v10, s21
	;; [unrolled: 1-line block ×4, first 2 shown]
	global_store_dwordx4 v[7:8], v[9:12], off offset:8
.LBB6_423:
	s_or_b64 exec, exec, s[24:25]
	s_lshl_b64 s[20:21], s[22:23], 12
	v_mov_b32_e32 v5, s21
	v_add_co_u32_e32 v2, vcc, s20, v2
	v_addc_co_u32_e32 v11, vcc, v3, v5, vcc
	s_mov_b32 s20, 0
	v_mov_b32_e32 v3, 33
	v_mov_b32_e32 v5, v4
	;; [unrolled: 1-line block ×3, first 2 shown]
	v_readfirstlane_b32 s24, v2
	v_readfirstlane_b32 s25, v11
	v_add_co_u32_e32 v9, vcc, v2, v31
	s_mov_b32 s21, s20
	s_mov_b32 s22, s20
	s_mov_b32 s23, s20
	s_nop 0
	global_store_dwordx4 v31, v[3:6], s[24:25]
	v_mov_b32_e32 v2, s20
	v_addc_co_u32_e32 v10, vcc, 0, v11, vcc
	v_mov_b32_e32 v3, s21
	v_mov_b32_e32 v4, s22
	v_mov_b32_e32 v5, s23
	global_store_dwordx4 v31, v[2:5], s[24:25] offset:16
	global_store_dwordx4 v31, v[2:5], s[24:25] offset:32
	;; [unrolled: 1-line block ×3, first 2 shown]
	s_and_saveexec_b64 s[20:21], s[4:5]
	s_cbranch_execz .LBB6_431
; %bb.424:
	v_mov_b32_e32 v6, 0
	global_load_dwordx2 v[13:14], v6, s[6:7] offset:32 glc
	global_load_dwordx2 v[2:3], v6, s[6:7] offset:40
	v_mov_b32_e32 v11, s18
	v_mov_b32_e32 v12, s19
	s_waitcnt vmcnt(0)
	v_readfirstlane_b32 s22, v2
	v_readfirstlane_b32 s23, v3
	s_and_b64 s[22:23], s[22:23], s[18:19]
	s_mul_i32 s15, s23, 24
	s_mul_hi_u32 s23, s22, 24
	s_mul_i32 s22, s22, 24
	s_add_i32 s15, s23, s15
	v_mov_b32_e32 v2, s15
	v_add_co_u32_e32 v4, vcc, s22, v0
	v_addc_co_u32_e32 v5, vcc, v1, v2, vcc
	global_store_dwordx2 v[4:5], v[13:14], off
	s_waitcnt vmcnt(0)
	global_atomic_cmpswap_x2 v[2:3], v6, v[11:14], s[6:7] offset:32 glc
	s_waitcnt vmcnt(0)
	v_cmp_ne_u64_e32 vcc, v[2:3], v[13:14]
	s_and_saveexec_b64 s[22:23], vcc
	s_cbranch_execz .LBB6_427
; %bb.425:
	s_mov_b64 s[24:25], 0
.LBB6_426:                              ; =>This Inner Loop Header: Depth=1
	s_sleep 1
	global_store_dwordx2 v[4:5], v[2:3], off
	v_mov_b32_e32 v0, s18
	v_mov_b32_e32 v1, s19
	s_waitcnt vmcnt(0)
	global_atomic_cmpswap_x2 v[0:1], v6, v[0:3], s[6:7] offset:32 glc
	s_waitcnt vmcnt(0)
	v_cmp_eq_u64_e32 vcc, v[0:1], v[2:3]
	v_mov_b32_e32 v3, v1
	s_or_b64 s[24:25], vcc, s[24:25]
	v_mov_b32_e32 v2, v0
	s_andn2_b64 exec, exec, s[24:25]
	s_cbranch_execnz .LBB6_426
.LBB6_427:
	s_or_b64 exec, exec, s[22:23]
	v_mov_b32_e32 v3, 0
	global_load_dwordx2 v[0:1], v3, s[6:7] offset:16
	s_mov_b64 s[22:23], exec
	v_mbcnt_lo_u32_b32 v2, s22, 0
	v_mbcnt_hi_u32_b32 v2, s23, v2
	v_cmp_eq_u32_e32 vcc, 0, v2
	s_and_saveexec_b64 s[24:25], vcc
	s_cbranch_execz .LBB6_429
; %bb.428:
	s_bcnt1_i32_b64 s15, s[22:23]
	v_mov_b32_e32 v2, s15
	s_waitcnt vmcnt(0)
	global_atomic_add_x2 v[0:1], v[2:3], off offset:8
.LBB6_429:
	s_or_b64 exec, exec, s[24:25]
	s_waitcnt vmcnt(0)
	global_load_dwordx2 v[2:3], v[0:1], off offset:16
	s_waitcnt vmcnt(0)
	v_cmp_eq_u64_e32 vcc, 0, v[2:3]
	s_cbranch_vccnz .LBB6_431
; %bb.430:
	global_load_dword v0, v[0:1], off offset:24
	v_mov_b32_e32 v1, 0
	s_waitcnt vmcnt(0)
	global_store_dwordx2 v[2:3], v[0:1], off
	v_and_b32_e32 v0, 0xffffff, v0
	v_readfirstlane_b32 m0, v0
	s_sendmsg sendmsg(MSG_INTERRUPT)
.LBB6_431:
	s_or_b64 exec, exec, s[20:21]
	s_branch .LBB6_435
.LBB6_432:                              ;   in Loop: Header=BB6_435 Depth=1
	s_or_b64 exec, exec, s[20:21]
	v_readfirstlane_b32 s15, v0
	s_cmp_eq_u32 s15, 0
	s_cbranch_scc1 .LBB6_434
; %bb.433:                              ;   in Loop: Header=BB6_435 Depth=1
	s_sleep 1
	s_cbranch_execnz .LBB6_435
	s_branch .LBB6_437
.LBB6_434:
	s_branch .LBB6_437
.LBB6_435:                              ; =>This Inner Loop Header: Depth=1
	v_mov_b32_e32 v0, 1
	s_and_saveexec_b64 s[20:21], s[4:5]
	s_cbranch_execz .LBB6_432
; %bb.436:                              ;   in Loop: Header=BB6_435 Depth=1
	global_load_dword v0, v[7:8], off offset:20 glc
	s_waitcnt vmcnt(0)
	buffer_wbinvl1_vol
	v_and_b32_e32 v0, 1, v0
	s_branch .LBB6_432
.LBB6_437:
	global_load_dwordx2 v[4:5], v[9:10], off
	s_and_saveexec_b64 s[20:21], s[4:5]
	s_cbranch_execz .LBB6_440
; %bb.438:
	v_mov_b32_e32 v8, 0
	global_load_dwordx2 v[2:3], v8, s[6:7] offset:40
	global_load_dwordx2 v[9:10], v8, s[6:7] offset:24 glc
	global_load_dwordx2 v[6:7], v8, s[6:7]
	v_mov_b32_e32 v1, s19
	s_mov_b64 s[4:5], 0
	s_waitcnt vmcnt(2)
	v_add_co_u32_e32 v11, vcc, 1, v2
	v_addc_co_u32_e32 v12, vcc, 0, v3, vcc
	v_add_co_u32_e32 v0, vcc, s18, v11
	v_addc_co_u32_e32 v1, vcc, v12, v1, vcc
	v_cmp_eq_u64_e32 vcc, 0, v[0:1]
	v_cndmask_b32_e32 v1, v1, v12, vcc
	v_cndmask_b32_e32 v0, v0, v11, vcc
	v_and_b32_e32 v3, v1, v3
	v_and_b32_e32 v2, v0, v2
	v_mul_lo_u32 v3, v3, 24
	v_mul_hi_u32 v11, v2, 24
	v_mul_lo_u32 v12, v2, 24
	s_waitcnt vmcnt(1)
	v_mov_b32_e32 v2, v9
	v_add_u32_e32 v3, v11, v3
	s_waitcnt vmcnt(0)
	v_add_co_u32_e32 v6, vcc, v6, v12
	v_addc_co_u32_e32 v7, vcc, v7, v3, vcc
	global_store_dwordx2 v[6:7], v[9:10], off
	v_mov_b32_e32 v3, v10
	s_waitcnt vmcnt(0)
	global_atomic_cmpswap_x2 v[2:3], v8, v[0:3], s[6:7] offset:24 glc
	s_waitcnt vmcnt(0)
	v_cmp_ne_u64_e32 vcc, v[2:3], v[9:10]
	s_and_b64 exec, exec, vcc
	s_cbranch_execz .LBB6_440
.LBB6_439:                              ; =>This Inner Loop Header: Depth=1
	s_sleep 1
	global_store_dwordx2 v[6:7], v[2:3], off
	s_waitcnt vmcnt(0)
	global_atomic_cmpswap_x2 v[9:10], v8, v[0:3], s[6:7] offset:24 glc
	s_waitcnt vmcnt(0)
	v_cmp_eq_u64_e32 vcc, v[9:10], v[2:3]
	v_mov_b32_e32 v2, v9
	s_or_b64 s[4:5], vcc, s[4:5]
	v_mov_b32_e32 v3, v10
	s_andn2_b64 exec, exec, s[4:5]
	s_cbranch_execnz .LBB6_439
.LBB6_440:
	s_or_b64 exec, exec, s[20:21]
	s_and_b64 vcc, exec, s[10:11]
	s_cbranch_vccz .LBB6_525
; %bb.441:
	s_waitcnt vmcnt(0)
	v_and_b32_e32 v29, 2, v4
	v_mov_b32_e32 v26, 0
	v_and_b32_e32 v0, -3, v4
	v_mov_b32_e32 v1, v5
	s_mov_b64 s[20:21], 3
	v_mov_b32_e32 v8, 2
	v_mov_b32_e32 v9, 1
	s_getpc_b64 s[18:19]
	s_add_u32 s18, s18, .str.5@rel32@lo+4
	s_addc_u32 s19, s19, .str.5@rel32@hi+12
	s_branch .LBB6_443
.LBB6_442:                              ;   in Loop: Header=BB6_443 Depth=1
	s_or_b64 exec, exec, s[26:27]
	s_sub_u32 s20, s20, s22
	s_subb_u32 s21, s21, s23
	s_add_u32 s18, s18, s22
	s_addc_u32 s19, s19, s23
	s_cmp_lg_u64 s[20:21], 0
	s_cbranch_scc0 .LBB6_524
.LBB6_443:                              ; =>This Loop Header: Depth=1
                                        ;     Child Loop BB6_446 Depth 2
                                        ;     Child Loop BB6_453 Depth 2
	;; [unrolled: 1-line block ×11, first 2 shown]
	v_cmp_lt_u64_e64 s[4:5], s[20:21], 56
	v_cmp_gt_u64_e64 s[24:25], s[20:21], 7
	s_and_b64 s[4:5], s[4:5], exec
	s_cselect_b32 s23, s21, 0
	s_cselect_b32 s22, s20, 56
	s_and_b64 vcc, exec, s[24:25]
	s_cbranch_vccnz .LBB6_448
; %bb.444:                              ;   in Loop: Header=BB6_443 Depth=1
	s_waitcnt vmcnt(0)
	v_mov_b32_e32 v2, 0
	s_cmp_eq_u64 s[20:21], 0
	v_mov_b32_e32 v3, 0
	s_mov_b64 s[4:5], 0
	s_cbranch_scc1 .LBB6_447
; %bb.445:                              ;   in Loop: Header=BB6_443 Depth=1
	v_mov_b32_e32 v2, 0
	s_lshl_b64 s[24:25], s[22:23], 3
	s_mov_b64 s[26:27], 0
	v_mov_b32_e32 v3, 0
	s_mov_b64 s[28:29], s[18:19]
.LBB6_446:                              ;   Parent Loop BB6_443 Depth=1
                                        ; =>  This Inner Loop Header: Depth=2
	global_load_ubyte v6, v26, s[28:29]
	s_waitcnt vmcnt(0)
	v_and_b32_e32 v25, 0xffff, v6
	v_lshlrev_b64 v[6:7], s26, v[25:26]
	s_add_u32 s26, s26, 8
	s_addc_u32 s27, s27, 0
	s_add_u32 s28, s28, 1
	s_addc_u32 s29, s29, 0
	v_or_b32_e32 v2, v6, v2
	s_cmp_lg_u32 s24, s26
	v_or_b32_e32 v3, v7, v3
	s_cbranch_scc1 .LBB6_446
.LBB6_447:                              ;   in Loop: Header=BB6_443 Depth=1
	s_mov_b32 s15, 0
	s_andn2_b64 vcc, exec, s[4:5]
	s_mov_b64 s[4:5], s[18:19]
	s_cbranch_vccz .LBB6_449
	s_branch .LBB6_450
.LBB6_448:                              ;   in Loop: Header=BB6_443 Depth=1
                                        ; implicit-def: $vgpr2_vgpr3
                                        ; implicit-def: $sgpr15
	s_mov_b64 s[4:5], s[18:19]
.LBB6_449:                              ;   in Loop: Header=BB6_443 Depth=1
	global_load_dwordx2 v[2:3], v26, s[18:19]
	s_add_i32 s15, s22, -8
	s_add_u32 s4, s18, 8
	s_addc_u32 s5, s19, 0
.LBB6_450:                              ;   in Loop: Header=BB6_443 Depth=1
	s_cmp_gt_u32 s15, 7
	s_cbranch_scc1 .LBB6_454
; %bb.451:                              ;   in Loop: Header=BB6_443 Depth=1
	s_cmp_eq_u32 s15, 0
	s_cbranch_scc1 .LBB6_455
; %bb.452:                              ;   in Loop: Header=BB6_443 Depth=1
	v_mov_b32_e32 v10, 0
	s_mov_b64 s[24:25], 0
	v_mov_b32_e32 v11, 0
	s_mov_b64 s[26:27], 0
.LBB6_453:                              ;   Parent Loop BB6_443 Depth=1
                                        ; =>  This Inner Loop Header: Depth=2
	s_add_u32 s28, s4, s26
	s_addc_u32 s29, s5, s27
	global_load_ubyte v6, v26, s[28:29]
	s_add_u32 s26, s26, 1
	s_addc_u32 s27, s27, 0
	s_waitcnt vmcnt(0)
	v_and_b32_e32 v25, 0xffff, v6
	v_lshlrev_b64 v[6:7], s24, v[25:26]
	s_add_u32 s24, s24, 8
	s_addc_u32 s25, s25, 0
	v_or_b32_e32 v10, v6, v10
	s_cmp_lg_u32 s15, s26
	v_or_b32_e32 v11, v7, v11
	s_cbranch_scc1 .LBB6_453
	s_branch .LBB6_456
.LBB6_454:                              ;   in Loop: Header=BB6_443 Depth=1
                                        ; implicit-def: $vgpr10_vgpr11
                                        ; implicit-def: $sgpr28
	s_branch .LBB6_457
.LBB6_455:                              ;   in Loop: Header=BB6_443 Depth=1
	v_mov_b32_e32 v10, 0
	v_mov_b32_e32 v11, 0
.LBB6_456:                              ;   in Loop: Header=BB6_443 Depth=1
	s_mov_b32 s28, 0
	s_cbranch_execnz .LBB6_458
.LBB6_457:                              ;   in Loop: Header=BB6_443 Depth=1
	global_load_dwordx2 v[10:11], v26, s[4:5]
	s_add_i32 s28, s15, -8
	s_add_u32 s4, s4, 8
	s_addc_u32 s5, s5, 0
.LBB6_458:                              ;   in Loop: Header=BB6_443 Depth=1
	s_cmp_gt_u32 s28, 7
	s_cbranch_scc1 .LBB6_462
; %bb.459:                              ;   in Loop: Header=BB6_443 Depth=1
	s_cmp_eq_u32 s28, 0
	s_cbranch_scc1 .LBB6_463
; %bb.460:                              ;   in Loop: Header=BB6_443 Depth=1
	v_mov_b32_e32 v12, 0
	s_mov_b64 s[24:25], 0
	v_mov_b32_e32 v13, 0
	s_mov_b64 s[26:27], 0
.LBB6_461:                              ;   Parent Loop BB6_443 Depth=1
                                        ; =>  This Inner Loop Header: Depth=2
	s_add_u32 vcc_lo, s4, s26
	s_addc_u32 vcc_hi, s5, s27
	global_load_ubyte v6, v26, vcc
	s_add_u32 s26, s26, 1
	s_addc_u32 s27, s27, 0
	s_waitcnt vmcnt(0)
	v_and_b32_e32 v25, 0xffff, v6
	v_lshlrev_b64 v[6:7], s24, v[25:26]
	s_add_u32 s24, s24, 8
	s_addc_u32 s25, s25, 0
	v_or_b32_e32 v12, v6, v12
	s_cmp_lg_u32 s28, s26
	v_or_b32_e32 v13, v7, v13
	s_cbranch_scc1 .LBB6_461
	s_branch .LBB6_464
.LBB6_462:                              ;   in Loop: Header=BB6_443 Depth=1
                                        ; implicit-def: $sgpr15
	s_branch .LBB6_465
.LBB6_463:                              ;   in Loop: Header=BB6_443 Depth=1
	v_mov_b32_e32 v12, 0
	v_mov_b32_e32 v13, 0
.LBB6_464:                              ;   in Loop: Header=BB6_443 Depth=1
	s_mov_b32 s15, 0
	s_cbranch_execnz .LBB6_466
.LBB6_465:                              ;   in Loop: Header=BB6_443 Depth=1
	global_load_dwordx2 v[12:13], v26, s[4:5]
	s_add_i32 s15, s28, -8
	s_add_u32 s4, s4, 8
	s_addc_u32 s5, s5, 0
.LBB6_466:                              ;   in Loop: Header=BB6_443 Depth=1
	s_cmp_gt_u32 s15, 7
	s_cbranch_scc1 .LBB6_470
; %bb.467:                              ;   in Loop: Header=BB6_443 Depth=1
	s_cmp_eq_u32 s15, 0
	s_cbranch_scc1 .LBB6_471
; %bb.468:                              ;   in Loop: Header=BB6_443 Depth=1
	v_mov_b32_e32 v14, 0
	s_mov_b64 s[24:25], 0
	v_mov_b32_e32 v15, 0
	s_mov_b64 s[26:27], 0
.LBB6_469:                              ;   Parent Loop BB6_443 Depth=1
                                        ; =>  This Inner Loop Header: Depth=2
	s_add_u32 s28, s4, s26
	s_addc_u32 s29, s5, s27
	global_load_ubyte v6, v26, s[28:29]
	s_add_u32 s26, s26, 1
	s_addc_u32 s27, s27, 0
	s_waitcnt vmcnt(0)
	v_and_b32_e32 v25, 0xffff, v6
	v_lshlrev_b64 v[6:7], s24, v[25:26]
	s_add_u32 s24, s24, 8
	s_addc_u32 s25, s25, 0
	v_or_b32_e32 v14, v6, v14
	s_cmp_lg_u32 s15, s26
	v_or_b32_e32 v15, v7, v15
	s_cbranch_scc1 .LBB6_469
	s_branch .LBB6_472
.LBB6_470:                              ;   in Loop: Header=BB6_443 Depth=1
                                        ; implicit-def: $vgpr14_vgpr15
                                        ; implicit-def: $sgpr28
	s_branch .LBB6_473
.LBB6_471:                              ;   in Loop: Header=BB6_443 Depth=1
	v_mov_b32_e32 v14, 0
	v_mov_b32_e32 v15, 0
.LBB6_472:                              ;   in Loop: Header=BB6_443 Depth=1
	s_mov_b32 s28, 0
	s_cbranch_execnz .LBB6_474
.LBB6_473:                              ;   in Loop: Header=BB6_443 Depth=1
	global_load_dwordx2 v[14:15], v26, s[4:5]
	s_add_i32 s28, s15, -8
	s_add_u32 s4, s4, 8
	s_addc_u32 s5, s5, 0
.LBB6_474:                              ;   in Loop: Header=BB6_443 Depth=1
	s_cmp_gt_u32 s28, 7
	s_cbranch_scc1 .LBB6_478
; %bb.475:                              ;   in Loop: Header=BB6_443 Depth=1
	s_cmp_eq_u32 s28, 0
	s_cbranch_scc1 .LBB6_479
; %bb.476:                              ;   in Loop: Header=BB6_443 Depth=1
	v_mov_b32_e32 v16, 0
	s_mov_b64 s[24:25], 0
	v_mov_b32_e32 v17, 0
	s_mov_b64 s[26:27], 0
.LBB6_477:                              ;   Parent Loop BB6_443 Depth=1
                                        ; =>  This Inner Loop Header: Depth=2
	s_add_u32 vcc_lo, s4, s26
	s_addc_u32 vcc_hi, s5, s27
	global_load_ubyte v6, v26, vcc
	s_add_u32 s26, s26, 1
	s_addc_u32 s27, s27, 0
	s_waitcnt vmcnt(0)
	v_and_b32_e32 v25, 0xffff, v6
	v_lshlrev_b64 v[6:7], s24, v[25:26]
	s_add_u32 s24, s24, 8
	s_addc_u32 s25, s25, 0
	v_or_b32_e32 v16, v6, v16
	s_cmp_lg_u32 s28, s26
	v_or_b32_e32 v17, v7, v17
	s_cbranch_scc1 .LBB6_477
	s_branch .LBB6_480
.LBB6_478:                              ;   in Loop: Header=BB6_443 Depth=1
                                        ; implicit-def: $sgpr15
	s_branch .LBB6_481
.LBB6_479:                              ;   in Loop: Header=BB6_443 Depth=1
	v_mov_b32_e32 v16, 0
	v_mov_b32_e32 v17, 0
.LBB6_480:                              ;   in Loop: Header=BB6_443 Depth=1
	s_mov_b32 s15, 0
	s_cbranch_execnz .LBB6_482
.LBB6_481:                              ;   in Loop: Header=BB6_443 Depth=1
	global_load_dwordx2 v[16:17], v26, s[4:5]
	s_add_i32 s15, s28, -8
	s_add_u32 s4, s4, 8
	s_addc_u32 s5, s5, 0
.LBB6_482:                              ;   in Loop: Header=BB6_443 Depth=1
	s_cmp_gt_u32 s15, 7
	s_cbranch_scc1 .LBB6_486
; %bb.483:                              ;   in Loop: Header=BB6_443 Depth=1
	s_cmp_eq_u32 s15, 0
	s_cbranch_scc1 .LBB6_487
; %bb.484:                              ;   in Loop: Header=BB6_443 Depth=1
	v_mov_b32_e32 v18, 0
	s_mov_b64 s[24:25], 0
	v_mov_b32_e32 v19, 0
	s_mov_b64 s[26:27], 0
.LBB6_485:                              ;   Parent Loop BB6_443 Depth=1
                                        ; =>  This Inner Loop Header: Depth=2
	s_add_u32 s28, s4, s26
	s_addc_u32 s29, s5, s27
	global_load_ubyte v6, v26, s[28:29]
	s_add_u32 s26, s26, 1
	s_addc_u32 s27, s27, 0
	s_waitcnt vmcnt(0)
	v_and_b32_e32 v25, 0xffff, v6
	v_lshlrev_b64 v[6:7], s24, v[25:26]
	s_add_u32 s24, s24, 8
	s_addc_u32 s25, s25, 0
	v_or_b32_e32 v18, v6, v18
	s_cmp_lg_u32 s15, s26
	v_or_b32_e32 v19, v7, v19
	s_cbranch_scc1 .LBB6_485
	s_branch .LBB6_488
.LBB6_486:                              ;   in Loop: Header=BB6_443 Depth=1
                                        ; implicit-def: $vgpr18_vgpr19
                                        ; implicit-def: $sgpr28
	s_branch .LBB6_489
.LBB6_487:                              ;   in Loop: Header=BB6_443 Depth=1
	v_mov_b32_e32 v18, 0
	v_mov_b32_e32 v19, 0
.LBB6_488:                              ;   in Loop: Header=BB6_443 Depth=1
	s_mov_b32 s28, 0
	s_cbranch_execnz .LBB6_490
.LBB6_489:                              ;   in Loop: Header=BB6_443 Depth=1
	global_load_dwordx2 v[18:19], v26, s[4:5]
	s_add_i32 s28, s15, -8
	s_add_u32 s4, s4, 8
	s_addc_u32 s5, s5, 0
.LBB6_490:                              ;   in Loop: Header=BB6_443 Depth=1
	s_cmp_gt_u32 s28, 7
	s_cbranch_scc1 .LBB6_494
; %bb.491:                              ;   in Loop: Header=BB6_443 Depth=1
	s_cmp_eq_u32 s28, 0
	s_cbranch_scc1 .LBB6_495
; %bb.492:                              ;   in Loop: Header=BB6_443 Depth=1
	v_mov_b32_e32 v20, 0
	s_mov_b64 s[24:25], 0
	v_mov_b32_e32 v21, 0
	s_mov_b64 s[26:27], s[4:5]
.LBB6_493:                              ;   Parent Loop BB6_443 Depth=1
                                        ; =>  This Inner Loop Header: Depth=2
	global_load_ubyte v6, v26, s[26:27]
	s_add_i32 s28, s28, -1
	s_waitcnt vmcnt(0)
	v_and_b32_e32 v25, 0xffff, v6
	v_lshlrev_b64 v[6:7], s24, v[25:26]
	s_add_u32 s24, s24, 8
	s_addc_u32 s25, s25, 0
	s_add_u32 s26, s26, 1
	s_addc_u32 s27, s27, 0
	v_or_b32_e32 v20, v6, v20
	s_cmp_lg_u32 s28, 0
	v_or_b32_e32 v21, v7, v21
	s_cbranch_scc1 .LBB6_493
	s_branch .LBB6_496
.LBB6_494:                              ;   in Loop: Header=BB6_443 Depth=1
	s_branch .LBB6_497
.LBB6_495:                              ;   in Loop: Header=BB6_443 Depth=1
	v_mov_b32_e32 v20, 0
	v_mov_b32_e32 v21, 0
.LBB6_496:                              ;   in Loop: Header=BB6_443 Depth=1
	s_cbranch_execnz .LBB6_498
.LBB6_497:                              ;   in Loop: Header=BB6_443 Depth=1
	global_load_dwordx2 v[20:21], v26, s[4:5]
.LBB6_498:                              ;   in Loop: Header=BB6_443 Depth=1
	v_readfirstlane_b32 s4, v32
	v_mov_b32_e32 v6, 0
	v_mov_b32_e32 v7, 0
	v_cmp_eq_u32_e64 s[4:5], s4, v32
	s_and_saveexec_b64 s[24:25], s[4:5]
	s_cbranch_execz .LBB6_504
; %bb.499:                              ;   in Loop: Header=BB6_443 Depth=1
	global_load_dwordx2 v[24:25], v26, s[6:7] offset:24 glc
	s_waitcnt vmcnt(0)
	buffer_wbinvl1_vol
	global_load_dwordx2 v[6:7], v26, s[6:7] offset:40
	global_load_dwordx2 v[22:23], v26, s[6:7]
	s_waitcnt vmcnt(1)
	v_and_b32_e32 v6, v6, v24
	v_and_b32_e32 v7, v7, v25
	v_mul_lo_u32 v7, v7, 24
	v_mul_hi_u32 v27, v6, 24
	v_mul_lo_u32 v6, v6, 24
	v_add_u32_e32 v7, v27, v7
	s_waitcnt vmcnt(0)
	v_add_co_u32_e32 v6, vcc, v22, v6
	v_addc_co_u32_e32 v7, vcc, v23, v7, vcc
	global_load_dwordx2 v[22:23], v[6:7], off glc
	s_waitcnt vmcnt(0)
	global_atomic_cmpswap_x2 v[6:7], v26, v[22:25], s[6:7] offset:24 glc
	s_waitcnt vmcnt(0)
	buffer_wbinvl1_vol
	v_cmp_ne_u64_e32 vcc, v[6:7], v[24:25]
	s_and_saveexec_b64 s[26:27], vcc
	s_cbranch_execz .LBB6_503
; %bb.500:                              ;   in Loop: Header=BB6_443 Depth=1
	s_mov_b64 s[28:29], 0
.LBB6_501:                              ;   Parent Loop BB6_443 Depth=1
                                        ; =>  This Inner Loop Header: Depth=2
	s_sleep 1
	global_load_dwordx2 v[22:23], v26, s[6:7] offset:40
	global_load_dwordx2 v[27:28], v26, s[6:7]
	v_mov_b32_e32 v25, v7
	v_mov_b32_e32 v24, v6
	s_waitcnt vmcnt(1)
	v_and_b32_e32 v6, v22, v24
	s_waitcnt vmcnt(0)
	v_mad_u64_u32 v[6:7], vcc, v6, 24, v[27:28]
	v_and_b32_e32 v22, v23, v25
	v_mad_u64_u32 v[22:23], vcc, v22, 24, v[7:8]
	v_mov_b32_e32 v7, v22
	global_load_dwordx2 v[22:23], v[6:7], off glc
	s_waitcnt vmcnt(0)
	global_atomic_cmpswap_x2 v[6:7], v26, v[22:25], s[6:7] offset:24 glc
	s_waitcnt vmcnt(0)
	buffer_wbinvl1_vol
	v_cmp_eq_u64_e32 vcc, v[6:7], v[24:25]
	s_or_b64 s[28:29], vcc, s[28:29]
	s_andn2_b64 exec, exec, s[28:29]
	s_cbranch_execnz .LBB6_501
; %bb.502:                              ;   in Loop: Header=BB6_443 Depth=1
	s_or_b64 exec, exec, s[28:29]
.LBB6_503:                              ;   in Loop: Header=BB6_443 Depth=1
	s_or_b64 exec, exec, s[26:27]
.LBB6_504:                              ;   in Loop: Header=BB6_443 Depth=1
	s_or_b64 exec, exec, s[24:25]
	global_load_dwordx2 v[27:28], v26, s[6:7] offset:40
	global_load_dwordx4 v[22:25], v26, s[6:7]
	v_readfirstlane_b32 s24, v6
	v_readfirstlane_b32 s25, v7
	s_mov_b64 s[26:27], exec
	s_waitcnt vmcnt(1)
	v_readfirstlane_b32 s28, v27
	v_readfirstlane_b32 s29, v28
	s_and_b64 s[28:29], s[24:25], s[28:29]
	s_mul_i32 s15, s29, 24
	s_mul_hi_u32 vcc_lo, s28, 24
	s_mul_i32 vcc_hi, s28, 24
	s_add_i32 s15, vcc_lo, s15
	v_mov_b32_e32 v6, s15
	s_waitcnt vmcnt(0)
	v_add_co_u32_e32 v27, vcc, vcc_hi, v22
	v_addc_co_u32_e32 v28, vcc, v23, v6, vcc
	s_and_saveexec_b64 vcc, s[4:5]
	s_cbranch_execz .LBB6_506
; %bb.505:                              ;   in Loop: Header=BB6_443 Depth=1
	v_mov_b32_e32 v6, s26
	v_mov_b32_e32 v7, s27
	global_store_dwordx4 v[27:28], v[6:9], off offset:8
.LBB6_506:                              ;   in Loop: Header=BB6_443 Depth=1
	s_or_b64 exec, exec, vcc
	s_lshl_b64 s[26:27], s[28:29], 12
	v_mov_b32_e32 v6, s27
	v_add_co_u32_e32 v24, vcc, s26, v24
	v_addc_co_u32_e32 v30, vcc, v25, v6, vcc
	v_cmp_gt_u64_e64 vcc, s[20:21], 56
	v_or_b32_e32 v7, v0, v29
	s_lshl_b32 s15, s22, 2
	v_cndmask_b32_e32 v0, v7, v0, vcc
	s_add_i32 s15, s15, 28
	v_or_b32_e32 v6, 0, v1
	s_and_b32 s15, s15, 0x1e0
	v_and_b32_e32 v0, 0xffffff1f, v0
	v_cndmask_b32_e32 v1, v6, v1, vcc
	v_or_b32_e32 v0, s15, v0
	v_readfirstlane_b32 s26, v24
	v_readfirstlane_b32 s27, v30
	s_nop 4
	global_store_dwordx4 v31, v[0:3], s[26:27]
	global_store_dwordx4 v31, v[10:13], s[26:27] offset:16
	global_store_dwordx4 v31, v[14:17], s[26:27] offset:32
	;; [unrolled: 1-line block ×3, first 2 shown]
	s_and_saveexec_b64 s[26:27], s[4:5]
	s_cbranch_execz .LBB6_514
; %bb.507:                              ;   in Loop: Header=BB6_443 Depth=1
	global_load_dwordx2 v[12:13], v26, s[6:7] offset:32 glc
	global_load_dwordx2 v[0:1], v26, s[6:7] offset:40
	v_mov_b32_e32 v10, s24
	v_mov_b32_e32 v11, s25
	s_waitcnt vmcnt(0)
	v_readfirstlane_b32 s28, v0
	v_readfirstlane_b32 s29, v1
	s_and_b64 s[28:29], s[28:29], s[24:25]
	s_mul_i32 s15, s29, 24
	s_mul_hi_u32 s29, s28, 24
	s_mul_i32 s28, s28, 24
	s_add_i32 s15, s29, s15
	v_mov_b32_e32 v0, s15
	v_add_co_u32_e32 v6, vcc, s28, v22
	v_addc_co_u32_e32 v7, vcc, v23, v0, vcc
	global_store_dwordx2 v[6:7], v[12:13], off
	s_waitcnt vmcnt(0)
	global_atomic_cmpswap_x2 v[2:3], v26, v[10:13], s[6:7] offset:32 glc
	s_waitcnt vmcnt(0)
	v_cmp_ne_u64_e32 vcc, v[2:3], v[12:13]
	s_and_saveexec_b64 s[28:29], vcc
	s_cbranch_execz .LBB6_510
; %bb.508:                              ;   in Loop: Header=BB6_443 Depth=1
	s_mov_b64 s[30:31], 0
.LBB6_509:                              ;   Parent Loop BB6_443 Depth=1
                                        ; =>  This Inner Loop Header: Depth=2
	s_sleep 1
	global_store_dwordx2 v[6:7], v[2:3], off
	v_mov_b32_e32 v0, s24
	v_mov_b32_e32 v1, s25
	s_waitcnt vmcnt(0)
	global_atomic_cmpswap_x2 v[0:1], v26, v[0:3], s[6:7] offset:32 glc
	s_waitcnt vmcnt(0)
	v_cmp_eq_u64_e32 vcc, v[0:1], v[2:3]
	v_mov_b32_e32 v3, v1
	s_or_b64 s[30:31], vcc, s[30:31]
	v_mov_b32_e32 v2, v0
	s_andn2_b64 exec, exec, s[30:31]
	s_cbranch_execnz .LBB6_509
.LBB6_510:                              ;   in Loop: Header=BB6_443 Depth=1
	s_or_b64 exec, exec, s[28:29]
	global_load_dwordx2 v[0:1], v26, s[6:7] offset:16
	s_mov_b64 s[30:31], exec
	v_mbcnt_lo_u32_b32 v2, s30, 0
	v_mbcnt_hi_u32_b32 v2, s31, v2
	v_cmp_eq_u32_e32 vcc, 0, v2
	s_and_saveexec_b64 s[28:29], vcc
	s_cbranch_execz .LBB6_512
; %bb.511:                              ;   in Loop: Header=BB6_443 Depth=1
	s_bcnt1_i32_b64 s15, s[30:31]
	v_mov_b32_e32 v25, s15
	s_waitcnt vmcnt(0)
	global_atomic_add_x2 v[0:1], v[25:26], off offset:8
.LBB6_512:                              ;   in Loop: Header=BB6_443 Depth=1
	s_or_b64 exec, exec, s[28:29]
	s_waitcnt vmcnt(0)
	global_load_dwordx2 v[2:3], v[0:1], off offset:16
	s_waitcnt vmcnt(0)
	v_cmp_eq_u64_e32 vcc, 0, v[2:3]
	s_cbranch_vccnz .LBB6_514
; %bb.513:                              ;   in Loop: Header=BB6_443 Depth=1
	global_load_dword v25, v[0:1], off offset:24
	s_waitcnt vmcnt(0)
	v_and_b32_e32 v0, 0xffffff, v25
	v_readfirstlane_b32 m0, v0
	global_store_dwordx2 v[2:3], v[25:26], off
	s_sendmsg sendmsg(MSG_INTERRUPT)
.LBB6_514:                              ;   in Loop: Header=BB6_443 Depth=1
	s_or_b64 exec, exec, s[26:27]
	v_add_co_u32_e32 v0, vcc, v24, v31
	v_addc_co_u32_e32 v1, vcc, 0, v30, vcc
	s_branch .LBB6_518
.LBB6_515:                              ;   in Loop: Header=BB6_518 Depth=2
	s_or_b64 exec, exec, s[26:27]
	v_readfirstlane_b32 s15, v2
	s_cmp_eq_u32 s15, 0
	s_cbranch_scc1 .LBB6_517
; %bb.516:                              ;   in Loop: Header=BB6_518 Depth=2
	s_sleep 1
	s_cbranch_execnz .LBB6_518
	s_branch .LBB6_520
.LBB6_517:                              ;   in Loop: Header=BB6_443 Depth=1
	s_branch .LBB6_520
.LBB6_518:                              ;   Parent Loop BB6_443 Depth=1
                                        ; =>  This Inner Loop Header: Depth=2
	v_mov_b32_e32 v2, 1
	s_and_saveexec_b64 s[26:27], s[4:5]
	s_cbranch_execz .LBB6_515
; %bb.519:                              ;   in Loop: Header=BB6_518 Depth=2
	global_load_dword v2, v[27:28], off offset:20 glc
	s_waitcnt vmcnt(0)
	buffer_wbinvl1_vol
	v_and_b32_e32 v2, 1, v2
	s_branch .LBB6_515
.LBB6_520:                              ;   in Loop: Header=BB6_443 Depth=1
	global_load_dwordx4 v[0:3], v[0:1], off
	s_and_saveexec_b64 s[26:27], s[4:5]
	s_cbranch_execz .LBB6_442
; %bb.521:                              ;   in Loop: Header=BB6_443 Depth=1
	global_load_dwordx2 v[2:3], v26, s[6:7] offset:40
	global_load_dwordx2 v[6:7], v26, s[6:7] offset:24 glc
	global_load_dwordx2 v[13:14], v26, s[6:7]
	v_mov_b32_e32 v11, s25
	s_waitcnt vmcnt(2)
	v_add_co_u32_e32 v12, vcc, 1, v2
	v_addc_co_u32_e32 v15, vcc, 0, v3, vcc
	v_add_co_u32_e32 v10, vcc, s24, v12
	v_addc_co_u32_e32 v11, vcc, v15, v11, vcc
	v_cmp_eq_u64_e32 vcc, 0, v[10:11]
	v_cndmask_b32_e32 v11, v11, v15, vcc
	v_cndmask_b32_e32 v10, v10, v12, vcc
	v_and_b32_e32 v3, v11, v3
	v_and_b32_e32 v2, v10, v2
	v_mul_lo_u32 v3, v3, 24
	v_mul_hi_u32 v15, v2, 24
	v_mul_lo_u32 v2, v2, 24
	s_waitcnt vmcnt(1)
	v_mov_b32_e32 v12, v6
	v_add_u32_e32 v3, v15, v3
	s_waitcnt vmcnt(0)
	v_add_co_u32_e32 v2, vcc, v13, v2
	v_addc_co_u32_e32 v3, vcc, v14, v3, vcc
	global_store_dwordx2 v[2:3], v[6:7], off
	v_mov_b32_e32 v13, v7
	s_waitcnt vmcnt(0)
	global_atomic_cmpswap_x2 v[12:13], v26, v[10:13], s[6:7] offset:24 glc
	s_waitcnt vmcnt(0)
	v_cmp_ne_u64_e32 vcc, v[12:13], v[6:7]
	s_and_b64 exec, exec, vcc
	s_cbranch_execz .LBB6_442
; %bb.522:                              ;   in Loop: Header=BB6_443 Depth=1
	s_mov_b64 s[4:5], 0
.LBB6_523:                              ;   Parent Loop BB6_443 Depth=1
                                        ; =>  This Inner Loop Header: Depth=2
	s_sleep 1
	global_store_dwordx2 v[2:3], v[12:13], off
	s_waitcnt vmcnt(0)
	global_atomic_cmpswap_x2 v[6:7], v26, v[10:13], s[6:7] offset:24 glc
	s_waitcnt vmcnt(0)
	v_cmp_eq_u64_e32 vcc, v[6:7], v[12:13]
	v_mov_b32_e32 v13, v7
	s_or_b64 s[4:5], vcc, s[4:5]
	v_mov_b32_e32 v12, v6
	s_andn2_b64 exec, exec, s[4:5]
	s_cbranch_execnz .LBB6_523
	s_branch .LBB6_442
.LBB6_524:
	s_branch .LBB6_552
.LBB6_525:
                                        ; implicit-def: $vgpr0_vgpr1
	s_cbranch_execz .LBB6_552
; %bb.526:
	v_readfirstlane_b32 s4, v32
	v_mov_b32_e32 v7, 0
	v_mov_b32_e32 v8, 0
	v_cmp_eq_u32_e64 s[4:5], s4, v32
	s_and_saveexec_b64 s[18:19], s[4:5]
	s_cbranch_execz .LBB6_532
; %bb.527:
	s_waitcnt vmcnt(0)
	v_mov_b32_e32 v0, 0
	global_load_dwordx2 v[9:10], v0, s[6:7] offset:24 glc
	s_waitcnt vmcnt(0)
	buffer_wbinvl1_vol
	global_load_dwordx2 v[1:2], v0, s[6:7] offset:40
	global_load_dwordx2 v[6:7], v0, s[6:7]
	s_waitcnt vmcnt(1)
	v_and_b32_e32 v1, v1, v9
	v_and_b32_e32 v2, v2, v10
	v_mul_lo_u32 v2, v2, 24
	v_mul_hi_u32 v3, v1, 24
	v_mul_lo_u32 v1, v1, 24
	v_add_u32_e32 v2, v3, v2
	s_waitcnt vmcnt(0)
	v_add_co_u32_e32 v1, vcc, v6, v1
	v_addc_co_u32_e32 v2, vcc, v7, v2, vcc
	global_load_dwordx2 v[7:8], v[1:2], off glc
	s_waitcnt vmcnt(0)
	global_atomic_cmpswap_x2 v[7:8], v0, v[7:10], s[6:7] offset:24 glc
	s_waitcnt vmcnt(0)
	buffer_wbinvl1_vol
	v_cmp_ne_u64_e32 vcc, v[7:8], v[9:10]
	s_and_saveexec_b64 s[20:21], vcc
	s_cbranch_execz .LBB6_531
; %bb.528:
	s_mov_b64 s[22:23], 0
.LBB6_529:                              ; =>This Inner Loop Header: Depth=1
	s_sleep 1
	global_load_dwordx2 v[1:2], v0, s[6:7] offset:40
	global_load_dwordx2 v[11:12], v0, s[6:7]
	v_mov_b32_e32 v10, v8
	v_mov_b32_e32 v9, v7
	s_waitcnt vmcnt(1)
	v_and_b32_e32 v1, v1, v9
	s_waitcnt vmcnt(0)
	v_mad_u64_u32 v[6:7], s[24:25], v1, 24, v[11:12]
	v_and_b32_e32 v2, v2, v10
	v_mov_b32_e32 v1, v7
	v_mad_u64_u32 v[1:2], s[24:25], v2, 24, v[1:2]
	v_mov_b32_e32 v7, v1
	global_load_dwordx2 v[7:8], v[6:7], off glc
	s_waitcnt vmcnt(0)
	global_atomic_cmpswap_x2 v[7:8], v0, v[7:10], s[6:7] offset:24 glc
	s_waitcnt vmcnt(0)
	buffer_wbinvl1_vol
	v_cmp_eq_u64_e32 vcc, v[7:8], v[9:10]
	s_or_b64 s[22:23], vcc, s[22:23]
	s_andn2_b64 exec, exec, s[22:23]
	s_cbranch_execnz .LBB6_529
; %bb.530:
	s_or_b64 exec, exec, s[22:23]
.LBB6_531:
	s_or_b64 exec, exec, s[20:21]
.LBB6_532:
	s_or_b64 exec, exec, s[18:19]
	v_mov_b32_e32 v6, 0
	global_load_dwordx2 v[9:10], v6, s[6:7] offset:40
	global_load_dwordx4 v[0:3], v6, s[6:7]
	v_readfirstlane_b32 s18, v7
	v_readfirstlane_b32 s19, v8
	s_mov_b64 s[20:21], exec
	s_waitcnt vmcnt(1)
	v_readfirstlane_b32 s22, v9
	v_readfirstlane_b32 s23, v10
	s_and_b64 s[22:23], s[18:19], s[22:23]
	s_mul_i32 s15, s23, 24
	s_mul_hi_u32 s24, s22, 24
	s_mul_i32 s25, s22, 24
	s_add_i32 s15, s24, s15
	v_mov_b32_e32 v7, s15
	s_waitcnt vmcnt(0)
	v_add_co_u32_e32 v8, vcc, s25, v0
	v_addc_co_u32_e32 v9, vcc, v1, v7, vcc
	s_and_saveexec_b64 s[24:25], s[4:5]
	s_cbranch_execz .LBB6_534
; %bb.533:
	v_mov_b32_e32 v10, s20
	v_mov_b32_e32 v11, s21
	;; [unrolled: 1-line block ×4, first 2 shown]
	global_store_dwordx4 v[8:9], v[10:13], off offset:8
.LBB6_534:
	s_or_b64 exec, exec, s[24:25]
	s_lshl_b64 s[20:21], s[22:23], 12
	v_mov_b32_e32 v7, s21
	v_add_co_u32_e32 v2, vcc, s20, v2
	v_addc_co_u32_e32 v3, vcc, v3, v7, vcc
	s_movk_i32 s15, 0xff1f
	v_and_or_b32 v4, v4, s15, 32
	v_add_co_u32_e32 v10, vcc, v2, v31
	s_mov_b32 s20, 0
	v_mov_b32_e32 v7, v6
	v_readfirstlane_b32 s24, v2
	v_readfirstlane_b32 s25, v3
	v_addc_co_u32_e32 v11, vcc, 0, v3, vcc
	s_mov_b32 s21, s20
	s_mov_b32 s22, s20
	;; [unrolled: 1-line block ×3, first 2 shown]
	s_nop 0
	global_store_dwordx4 v31, v[4:7], s[24:25]
	v_mov_b32_e32 v2, s20
	v_mov_b32_e32 v3, s21
	;; [unrolled: 1-line block ×4, first 2 shown]
	global_store_dwordx4 v31, v[2:5], s[24:25] offset:16
	global_store_dwordx4 v31, v[2:5], s[24:25] offset:32
	;; [unrolled: 1-line block ×3, first 2 shown]
	s_and_saveexec_b64 s[20:21], s[4:5]
	s_cbranch_execz .LBB6_542
; %bb.535:
	v_mov_b32_e32 v6, 0
	global_load_dwordx2 v[14:15], v6, s[6:7] offset:32 glc
	global_load_dwordx2 v[2:3], v6, s[6:7] offset:40
	v_mov_b32_e32 v12, s18
	v_mov_b32_e32 v13, s19
	s_waitcnt vmcnt(0)
	v_readfirstlane_b32 s22, v2
	v_readfirstlane_b32 s23, v3
	s_and_b64 s[22:23], s[22:23], s[18:19]
	s_mul_i32 s15, s23, 24
	s_mul_hi_u32 s23, s22, 24
	s_mul_i32 s22, s22, 24
	s_add_i32 s15, s23, s15
	v_mov_b32_e32 v2, s15
	v_add_co_u32_e32 v4, vcc, s22, v0
	v_addc_co_u32_e32 v5, vcc, v1, v2, vcc
	global_store_dwordx2 v[4:5], v[14:15], off
	s_waitcnt vmcnt(0)
	global_atomic_cmpswap_x2 v[2:3], v6, v[12:15], s[6:7] offset:32 glc
	s_waitcnt vmcnt(0)
	v_cmp_ne_u64_e32 vcc, v[2:3], v[14:15]
	s_and_saveexec_b64 s[22:23], vcc
	s_cbranch_execz .LBB6_538
; %bb.536:
	s_mov_b64 s[24:25], 0
.LBB6_537:                              ; =>This Inner Loop Header: Depth=1
	s_sleep 1
	global_store_dwordx2 v[4:5], v[2:3], off
	v_mov_b32_e32 v0, s18
	v_mov_b32_e32 v1, s19
	s_waitcnt vmcnt(0)
	global_atomic_cmpswap_x2 v[0:1], v6, v[0:3], s[6:7] offset:32 glc
	s_waitcnt vmcnt(0)
	v_cmp_eq_u64_e32 vcc, v[0:1], v[2:3]
	v_mov_b32_e32 v3, v1
	s_or_b64 s[24:25], vcc, s[24:25]
	v_mov_b32_e32 v2, v0
	s_andn2_b64 exec, exec, s[24:25]
	s_cbranch_execnz .LBB6_537
.LBB6_538:
	s_or_b64 exec, exec, s[22:23]
	v_mov_b32_e32 v3, 0
	global_load_dwordx2 v[0:1], v3, s[6:7] offset:16
	s_mov_b64 s[22:23], exec
	v_mbcnt_lo_u32_b32 v2, s22, 0
	v_mbcnt_hi_u32_b32 v2, s23, v2
	v_cmp_eq_u32_e32 vcc, 0, v2
	s_and_saveexec_b64 s[24:25], vcc
	s_cbranch_execz .LBB6_540
; %bb.539:
	s_bcnt1_i32_b64 s15, s[22:23]
	v_mov_b32_e32 v2, s15
	s_waitcnt vmcnt(0)
	global_atomic_add_x2 v[0:1], v[2:3], off offset:8
.LBB6_540:
	s_or_b64 exec, exec, s[24:25]
	s_waitcnt vmcnt(0)
	global_load_dwordx2 v[2:3], v[0:1], off offset:16
	s_waitcnt vmcnt(0)
	v_cmp_eq_u64_e32 vcc, 0, v[2:3]
	s_cbranch_vccnz .LBB6_542
; %bb.541:
	global_load_dword v0, v[0:1], off offset:24
	v_mov_b32_e32 v1, 0
	s_waitcnt vmcnt(0)
	global_store_dwordx2 v[2:3], v[0:1], off
	v_and_b32_e32 v0, 0xffffff, v0
	v_readfirstlane_b32 m0, v0
	s_sendmsg sendmsg(MSG_INTERRUPT)
.LBB6_542:
	s_or_b64 exec, exec, s[20:21]
	s_branch .LBB6_546
.LBB6_543:                              ;   in Loop: Header=BB6_546 Depth=1
	s_or_b64 exec, exec, s[20:21]
	v_readfirstlane_b32 s15, v0
	s_cmp_eq_u32 s15, 0
	s_cbranch_scc1 .LBB6_545
; %bb.544:                              ;   in Loop: Header=BB6_546 Depth=1
	s_sleep 1
	s_cbranch_execnz .LBB6_546
	s_branch .LBB6_548
.LBB6_545:
	s_branch .LBB6_548
.LBB6_546:                              ; =>This Inner Loop Header: Depth=1
	v_mov_b32_e32 v0, 1
	s_and_saveexec_b64 s[20:21], s[4:5]
	s_cbranch_execz .LBB6_543
; %bb.547:                              ;   in Loop: Header=BB6_546 Depth=1
	global_load_dword v0, v[8:9], off offset:20 glc
	s_waitcnt vmcnt(0)
	buffer_wbinvl1_vol
	v_and_b32_e32 v0, 1, v0
	s_branch .LBB6_543
.LBB6_548:
	global_load_dwordx2 v[0:1], v[10:11], off
	s_and_saveexec_b64 s[20:21], s[4:5]
	s_cbranch_execz .LBB6_551
; %bb.549:
	v_mov_b32_e32 v8, 0
	global_load_dwordx2 v[4:5], v8, s[6:7] offset:40
	global_load_dwordx2 v[9:10], v8, s[6:7] offset:24 glc
	global_load_dwordx2 v[6:7], v8, s[6:7]
	v_mov_b32_e32 v3, s19
	s_mov_b64 s[4:5], 0
	s_waitcnt vmcnt(2)
	v_add_co_u32_e32 v11, vcc, 1, v4
	v_addc_co_u32_e32 v12, vcc, 0, v5, vcc
	v_add_co_u32_e32 v2, vcc, s18, v11
	v_addc_co_u32_e32 v3, vcc, v12, v3, vcc
	v_cmp_eq_u64_e32 vcc, 0, v[2:3]
	v_cndmask_b32_e32 v3, v3, v12, vcc
	v_cndmask_b32_e32 v2, v2, v11, vcc
	v_and_b32_e32 v5, v3, v5
	v_and_b32_e32 v4, v2, v4
	v_mul_lo_u32 v5, v5, 24
	v_mul_hi_u32 v11, v4, 24
	v_mul_lo_u32 v12, v4, 24
	s_waitcnt vmcnt(1)
	v_mov_b32_e32 v4, v9
	v_add_u32_e32 v5, v11, v5
	s_waitcnt vmcnt(0)
	v_add_co_u32_e32 v6, vcc, v6, v12
	v_addc_co_u32_e32 v7, vcc, v7, v5, vcc
	global_store_dwordx2 v[6:7], v[9:10], off
	v_mov_b32_e32 v5, v10
	s_waitcnt vmcnt(0)
	global_atomic_cmpswap_x2 v[4:5], v8, v[2:5], s[6:7] offset:24 glc
	s_waitcnt vmcnt(0)
	v_cmp_ne_u64_e32 vcc, v[4:5], v[9:10]
	s_and_b64 exec, exec, vcc
	s_cbranch_execz .LBB6_551
.LBB6_550:                              ; =>This Inner Loop Header: Depth=1
	s_sleep 1
	global_store_dwordx2 v[6:7], v[4:5], off
	s_waitcnt vmcnt(0)
	global_atomic_cmpswap_x2 v[9:10], v8, v[2:5], s[6:7] offset:24 glc
	s_waitcnt vmcnt(0)
	v_cmp_eq_u64_e32 vcc, v[9:10], v[4:5]
	v_mov_b32_e32 v4, v9
	s_or_b64 s[4:5], vcc, s[4:5]
	v_mov_b32_e32 v5, v10
	s_andn2_b64 exec, exec, s[4:5]
	s_cbranch_execnz .LBB6_550
.LBB6_551:
	s_or_b64 exec, exec, s[20:21]
.LBB6_552:
	s_getpc_b64 s[18:19]
	s_add_u32 s18, s18, .str.1@rel32@lo+4
	s_addc_u32 s19, s19, .str.1@rel32@hi+12
	s_cmp_lg_u64 s[18:19], 0
	s_cbranch_scc0 .LBB6_637
; %bb.553:
	s_waitcnt vmcnt(0)
	v_and_b32_e32 v6, -3, v0
	v_mov_b32_e32 v7, v1
	s_mov_b64 s[20:21], 0x53
	v_mov_b32_e32 v26, 0
	v_mov_b32_e32 v4, 2
	;; [unrolled: 1-line block ×3, first 2 shown]
	s_branch .LBB6_555
.LBB6_554:                              ;   in Loop: Header=BB6_555 Depth=1
	s_or_b64 exec, exec, s[26:27]
	s_sub_u32 s20, s20, s22
	s_subb_u32 s21, s21, s23
	s_add_u32 s18, s18, s22
	s_addc_u32 s19, s19, s23
	s_cmp_lg_u64 s[20:21], 0
	s_cbranch_scc0 .LBB6_636
.LBB6_555:                              ; =>This Loop Header: Depth=1
                                        ;     Child Loop BB6_558 Depth 2
                                        ;     Child Loop BB6_565 Depth 2
	;; [unrolled: 1-line block ×11, first 2 shown]
	v_cmp_lt_u64_e64 s[4:5], s[20:21], 56
	v_cmp_gt_u64_e64 s[24:25], s[20:21], 7
	s_and_b64 s[4:5], s[4:5], exec
	s_cselect_b32 s23, s21, 0
	s_cselect_b32 s22, s20, 56
	s_and_b64 vcc, exec, s[24:25]
	s_cbranch_vccnz .LBB6_560
; %bb.556:                              ;   in Loop: Header=BB6_555 Depth=1
	s_waitcnt vmcnt(0)
	v_mov_b32_e32 v8, 0
	s_cmp_eq_u64 s[20:21], 0
	v_mov_b32_e32 v9, 0
	s_mov_b64 s[4:5], 0
	s_cbranch_scc1 .LBB6_559
; %bb.557:                              ;   in Loop: Header=BB6_555 Depth=1
	v_mov_b32_e32 v8, 0
	s_lshl_b64 s[24:25], s[22:23], 3
	s_mov_b64 s[26:27], 0
	v_mov_b32_e32 v9, 0
	s_mov_b64 s[28:29], s[18:19]
.LBB6_558:                              ;   Parent Loop BB6_555 Depth=1
                                        ; =>  This Inner Loop Header: Depth=2
	global_load_ubyte v2, v26, s[28:29]
	s_waitcnt vmcnt(0)
	v_and_b32_e32 v25, 0xffff, v2
	v_lshlrev_b64 v[2:3], s26, v[25:26]
	s_add_u32 s26, s26, 8
	s_addc_u32 s27, s27, 0
	s_add_u32 s28, s28, 1
	s_addc_u32 s29, s29, 0
	v_or_b32_e32 v8, v2, v8
	s_cmp_lg_u32 s24, s26
	v_or_b32_e32 v9, v3, v9
	s_cbranch_scc1 .LBB6_558
.LBB6_559:                              ;   in Loop: Header=BB6_555 Depth=1
	s_mov_b32 s15, 0
	s_andn2_b64 vcc, exec, s[4:5]
	s_mov_b64 s[4:5], s[18:19]
	s_cbranch_vccz .LBB6_561
	s_branch .LBB6_562
.LBB6_560:                              ;   in Loop: Header=BB6_555 Depth=1
                                        ; implicit-def: $sgpr15
	s_mov_b64 s[4:5], s[18:19]
.LBB6_561:                              ;   in Loop: Header=BB6_555 Depth=1
	global_load_dwordx2 v[8:9], v26, s[18:19]
	s_add_i32 s15, s22, -8
	s_add_u32 s4, s18, 8
	s_addc_u32 s5, s19, 0
.LBB6_562:                              ;   in Loop: Header=BB6_555 Depth=1
	s_cmp_gt_u32 s15, 7
	s_cbranch_scc1 .LBB6_566
; %bb.563:                              ;   in Loop: Header=BB6_555 Depth=1
	s_cmp_eq_u32 s15, 0
	s_cbranch_scc1 .LBB6_567
; %bb.564:                              ;   in Loop: Header=BB6_555 Depth=1
	v_mov_b32_e32 v10, 0
	s_mov_b64 s[24:25], 0
	v_mov_b32_e32 v11, 0
	s_mov_b64 s[26:27], 0
.LBB6_565:                              ;   Parent Loop BB6_555 Depth=1
                                        ; =>  This Inner Loop Header: Depth=2
	s_add_u32 s28, s4, s26
	s_addc_u32 s29, s5, s27
	global_load_ubyte v2, v26, s[28:29]
	s_add_u32 s26, s26, 1
	s_addc_u32 s27, s27, 0
	s_waitcnt vmcnt(0)
	v_and_b32_e32 v25, 0xffff, v2
	v_lshlrev_b64 v[2:3], s24, v[25:26]
	s_add_u32 s24, s24, 8
	s_addc_u32 s25, s25, 0
	v_or_b32_e32 v10, v2, v10
	s_cmp_lg_u32 s15, s26
	v_or_b32_e32 v11, v3, v11
	s_cbranch_scc1 .LBB6_565
	s_branch .LBB6_568
.LBB6_566:                              ;   in Loop: Header=BB6_555 Depth=1
                                        ; implicit-def: $vgpr10_vgpr11
                                        ; implicit-def: $sgpr28
	s_branch .LBB6_569
.LBB6_567:                              ;   in Loop: Header=BB6_555 Depth=1
	v_mov_b32_e32 v10, 0
	v_mov_b32_e32 v11, 0
.LBB6_568:                              ;   in Loop: Header=BB6_555 Depth=1
	s_mov_b32 s28, 0
	s_cbranch_execnz .LBB6_570
.LBB6_569:                              ;   in Loop: Header=BB6_555 Depth=1
	global_load_dwordx2 v[10:11], v26, s[4:5]
	s_add_i32 s28, s15, -8
	s_add_u32 s4, s4, 8
	s_addc_u32 s5, s5, 0
.LBB6_570:                              ;   in Loop: Header=BB6_555 Depth=1
	s_cmp_gt_u32 s28, 7
	s_cbranch_scc1 .LBB6_574
; %bb.571:                              ;   in Loop: Header=BB6_555 Depth=1
	s_cmp_eq_u32 s28, 0
	s_cbranch_scc1 .LBB6_575
; %bb.572:                              ;   in Loop: Header=BB6_555 Depth=1
	v_mov_b32_e32 v12, 0
	s_mov_b64 s[24:25], 0
	v_mov_b32_e32 v13, 0
	s_mov_b64 s[26:27], 0
.LBB6_573:                              ;   Parent Loop BB6_555 Depth=1
                                        ; =>  This Inner Loop Header: Depth=2
	s_add_u32 vcc_lo, s4, s26
	s_addc_u32 vcc_hi, s5, s27
	global_load_ubyte v2, v26, vcc
	s_add_u32 s26, s26, 1
	s_addc_u32 s27, s27, 0
	s_waitcnt vmcnt(0)
	v_and_b32_e32 v25, 0xffff, v2
	v_lshlrev_b64 v[2:3], s24, v[25:26]
	s_add_u32 s24, s24, 8
	s_addc_u32 s25, s25, 0
	v_or_b32_e32 v12, v2, v12
	s_cmp_lg_u32 s28, s26
	v_or_b32_e32 v13, v3, v13
	s_cbranch_scc1 .LBB6_573
	s_branch .LBB6_576
.LBB6_574:                              ;   in Loop: Header=BB6_555 Depth=1
                                        ; implicit-def: $sgpr15
	s_branch .LBB6_577
.LBB6_575:                              ;   in Loop: Header=BB6_555 Depth=1
	v_mov_b32_e32 v12, 0
	v_mov_b32_e32 v13, 0
.LBB6_576:                              ;   in Loop: Header=BB6_555 Depth=1
	s_mov_b32 s15, 0
	s_cbranch_execnz .LBB6_578
.LBB6_577:                              ;   in Loop: Header=BB6_555 Depth=1
	global_load_dwordx2 v[12:13], v26, s[4:5]
	s_add_i32 s15, s28, -8
	s_add_u32 s4, s4, 8
	s_addc_u32 s5, s5, 0
.LBB6_578:                              ;   in Loop: Header=BB6_555 Depth=1
	s_cmp_gt_u32 s15, 7
	s_cbranch_scc1 .LBB6_582
; %bb.579:                              ;   in Loop: Header=BB6_555 Depth=1
	s_cmp_eq_u32 s15, 0
	s_cbranch_scc1 .LBB6_583
; %bb.580:                              ;   in Loop: Header=BB6_555 Depth=1
	v_mov_b32_e32 v14, 0
	s_mov_b64 s[24:25], 0
	v_mov_b32_e32 v15, 0
	s_mov_b64 s[26:27], 0
.LBB6_581:                              ;   Parent Loop BB6_555 Depth=1
                                        ; =>  This Inner Loop Header: Depth=2
	s_add_u32 s28, s4, s26
	s_addc_u32 s29, s5, s27
	global_load_ubyte v2, v26, s[28:29]
	s_add_u32 s26, s26, 1
	s_addc_u32 s27, s27, 0
	s_waitcnt vmcnt(0)
	v_and_b32_e32 v25, 0xffff, v2
	v_lshlrev_b64 v[2:3], s24, v[25:26]
	s_add_u32 s24, s24, 8
	s_addc_u32 s25, s25, 0
	v_or_b32_e32 v14, v2, v14
	s_cmp_lg_u32 s15, s26
	v_or_b32_e32 v15, v3, v15
	s_cbranch_scc1 .LBB6_581
	s_branch .LBB6_584
.LBB6_582:                              ;   in Loop: Header=BB6_555 Depth=1
                                        ; implicit-def: $vgpr14_vgpr15
                                        ; implicit-def: $sgpr28
	s_branch .LBB6_585
.LBB6_583:                              ;   in Loop: Header=BB6_555 Depth=1
	v_mov_b32_e32 v14, 0
	v_mov_b32_e32 v15, 0
.LBB6_584:                              ;   in Loop: Header=BB6_555 Depth=1
	s_mov_b32 s28, 0
	s_cbranch_execnz .LBB6_586
.LBB6_585:                              ;   in Loop: Header=BB6_555 Depth=1
	global_load_dwordx2 v[14:15], v26, s[4:5]
	s_add_i32 s28, s15, -8
	s_add_u32 s4, s4, 8
	s_addc_u32 s5, s5, 0
.LBB6_586:                              ;   in Loop: Header=BB6_555 Depth=1
	s_cmp_gt_u32 s28, 7
	s_cbranch_scc1 .LBB6_590
; %bb.587:                              ;   in Loop: Header=BB6_555 Depth=1
	s_cmp_eq_u32 s28, 0
	s_cbranch_scc1 .LBB6_591
; %bb.588:                              ;   in Loop: Header=BB6_555 Depth=1
	v_mov_b32_e32 v16, 0
	s_mov_b64 s[24:25], 0
	v_mov_b32_e32 v17, 0
	s_mov_b64 s[26:27], 0
.LBB6_589:                              ;   Parent Loop BB6_555 Depth=1
                                        ; =>  This Inner Loop Header: Depth=2
	s_add_u32 vcc_lo, s4, s26
	s_addc_u32 vcc_hi, s5, s27
	global_load_ubyte v2, v26, vcc
	s_add_u32 s26, s26, 1
	s_addc_u32 s27, s27, 0
	s_waitcnt vmcnt(0)
	v_and_b32_e32 v25, 0xffff, v2
	v_lshlrev_b64 v[2:3], s24, v[25:26]
	s_add_u32 s24, s24, 8
	s_addc_u32 s25, s25, 0
	v_or_b32_e32 v16, v2, v16
	s_cmp_lg_u32 s28, s26
	v_or_b32_e32 v17, v3, v17
	s_cbranch_scc1 .LBB6_589
	s_branch .LBB6_592
.LBB6_590:                              ;   in Loop: Header=BB6_555 Depth=1
                                        ; implicit-def: $sgpr15
	s_branch .LBB6_593
.LBB6_591:                              ;   in Loop: Header=BB6_555 Depth=1
	v_mov_b32_e32 v16, 0
	v_mov_b32_e32 v17, 0
.LBB6_592:                              ;   in Loop: Header=BB6_555 Depth=1
	s_mov_b32 s15, 0
	s_cbranch_execnz .LBB6_594
.LBB6_593:                              ;   in Loop: Header=BB6_555 Depth=1
	global_load_dwordx2 v[16:17], v26, s[4:5]
	s_add_i32 s15, s28, -8
	s_add_u32 s4, s4, 8
	s_addc_u32 s5, s5, 0
.LBB6_594:                              ;   in Loop: Header=BB6_555 Depth=1
	s_cmp_gt_u32 s15, 7
	s_cbranch_scc1 .LBB6_598
; %bb.595:                              ;   in Loop: Header=BB6_555 Depth=1
	s_cmp_eq_u32 s15, 0
	s_cbranch_scc1 .LBB6_599
; %bb.596:                              ;   in Loop: Header=BB6_555 Depth=1
	v_mov_b32_e32 v18, 0
	s_mov_b64 s[24:25], 0
	v_mov_b32_e32 v19, 0
	s_mov_b64 s[26:27], 0
.LBB6_597:                              ;   Parent Loop BB6_555 Depth=1
                                        ; =>  This Inner Loop Header: Depth=2
	s_add_u32 s28, s4, s26
	s_addc_u32 s29, s5, s27
	global_load_ubyte v2, v26, s[28:29]
	s_add_u32 s26, s26, 1
	s_addc_u32 s27, s27, 0
	s_waitcnt vmcnt(0)
	v_and_b32_e32 v25, 0xffff, v2
	v_lshlrev_b64 v[2:3], s24, v[25:26]
	s_add_u32 s24, s24, 8
	s_addc_u32 s25, s25, 0
	v_or_b32_e32 v18, v2, v18
	s_cmp_lg_u32 s15, s26
	v_or_b32_e32 v19, v3, v19
	s_cbranch_scc1 .LBB6_597
	s_branch .LBB6_600
.LBB6_598:                              ;   in Loop: Header=BB6_555 Depth=1
                                        ; implicit-def: $vgpr18_vgpr19
                                        ; implicit-def: $sgpr28
	s_branch .LBB6_601
.LBB6_599:                              ;   in Loop: Header=BB6_555 Depth=1
	v_mov_b32_e32 v18, 0
	v_mov_b32_e32 v19, 0
.LBB6_600:                              ;   in Loop: Header=BB6_555 Depth=1
	s_mov_b32 s28, 0
	s_cbranch_execnz .LBB6_602
.LBB6_601:                              ;   in Loop: Header=BB6_555 Depth=1
	global_load_dwordx2 v[18:19], v26, s[4:5]
	s_add_i32 s28, s15, -8
	s_add_u32 s4, s4, 8
	s_addc_u32 s5, s5, 0
.LBB6_602:                              ;   in Loop: Header=BB6_555 Depth=1
	s_cmp_gt_u32 s28, 7
	s_cbranch_scc1 .LBB6_606
; %bb.603:                              ;   in Loop: Header=BB6_555 Depth=1
	s_cmp_eq_u32 s28, 0
	s_cbranch_scc1 .LBB6_607
; %bb.604:                              ;   in Loop: Header=BB6_555 Depth=1
	v_mov_b32_e32 v20, 0
	s_mov_b64 s[24:25], 0
	v_mov_b32_e32 v21, 0
	s_mov_b64 s[26:27], s[4:5]
.LBB6_605:                              ;   Parent Loop BB6_555 Depth=1
                                        ; =>  This Inner Loop Header: Depth=2
	global_load_ubyte v2, v26, s[26:27]
	s_add_i32 s28, s28, -1
	s_waitcnt vmcnt(0)
	v_and_b32_e32 v25, 0xffff, v2
	v_lshlrev_b64 v[2:3], s24, v[25:26]
	s_add_u32 s24, s24, 8
	s_addc_u32 s25, s25, 0
	s_add_u32 s26, s26, 1
	s_addc_u32 s27, s27, 0
	v_or_b32_e32 v20, v2, v20
	s_cmp_lg_u32 s28, 0
	v_or_b32_e32 v21, v3, v21
	s_cbranch_scc1 .LBB6_605
	s_branch .LBB6_608
.LBB6_606:                              ;   in Loop: Header=BB6_555 Depth=1
	s_branch .LBB6_609
.LBB6_607:                              ;   in Loop: Header=BB6_555 Depth=1
	v_mov_b32_e32 v20, 0
	v_mov_b32_e32 v21, 0
.LBB6_608:                              ;   in Loop: Header=BB6_555 Depth=1
	s_cbranch_execnz .LBB6_610
.LBB6_609:                              ;   in Loop: Header=BB6_555 Depth=1
	global_load_dwordx2 v[20:21], v26, s[4:5]
.LBB6_610:                              ;   in Loop: Header=BB6_555 Depth=1
	v_readfirstlane_b32 s4, v32
	v_mov_b32_e32 v2, 0
	v_mov_b32_e32 v3, 0
	v_cmp_eq_u32_e64 s[4:5], s4, v32
	s_and_saveexec_b64 s[24:25], s[4:5]
	s_cbranch_execz .LBB6_616
; %bb.611:                              ;   in Loop: Header=BB6_555 Depth=1
	global_load_dwordx2 v[24:25], v26, s[6:7] offset:24 glc
	s_waitcnt vmcnt(0)
	buffer_wbinvl1_vol
	global_load_dwordx2 v[2:3], v26, s[6:7] offset:40
	global_load_dwordx2 v[22:23], v26, s[6:7]
	s_waitcnt vmcnt(1)
	v_and_b32_e32 v2, v2, v24
	v_and_b32_e32 v3, v3, v25
	v_mul_lo_u32 v3, v3, 24
	v_mul_hi_u32 v27, v2, 24
	v_mul_lo_u32 v2, v2, 24
	v_add_u32_e32 v3, v27, v3
	s_waitcnt vmcnt(0)
	v_add_co_u32_e32 v2, vcc, v22, v2
	v_addc_co_u32_e32 v3, vcc, v23, v3, vcc
	global_load_dwordx2 v[22:23], v[2:3], off glc
	s_waitcnt vmcnt(0)
	global_atomic_cmpswap_x2 v[2:3], v26, v[22:25], s[6:7] offset:24 glc
	s_waitcnt vmcnt(0)
	buffer_wbinvl1_vol
	v_cmp_ne_u64_e32 vcc, v[2:3], v[24:25]
	s_and_saveexec_b64 s[26:27], vcc
	s_cbranch_execz .LBB6_615
; %bb.612:                              ;   in Loop: Header=BB6_555 Depth=1
	s_mov_b64 s[28:29], 0
.LBB6_613:                              ;   Parent Loop BB6_555 Depth=1
                                        ; =>  This Inner Loop Header: Depth=2
	s_sleep 1
	global_load_dwordx2 v[22:23], v26, s[6:7] offset:40
	global_load_dwordx2 v[27:28], v26, s[6:7]
	v_mov_b32_e32 v25, v3
	v_mov_b32_e32 v24, v2
	s_waitcnt vmcnt(1)
	v_and_b32_e32 v2, v22, v24
	s_waitcnt vmcnt(0)
	v_mad_u64_u32 v[2:3], vcc, v2, 24, v[27:28]
	v_and_b32_e32 v22, v23, v25
	v_mad_u64_u32 v[22:23], vcc, v22, 24, v[3:4]
	v_mov_b32_e32 v3, v22
	global_load_dwordx2 v[22:23], v[2:3], off glc
	s_waitcnt vmcnt(0)
	global_atomic_cmpswap_x2 v[2:3], v26, v[22:25], s[6:7] offset:24 glc
	s_waitcnt vmcnt(0)
	buffer_wbinvl1_vol
	v_cmp_eq_u64_e32 vcc, v[2:3], v[24:25]
	s_or_b64 s[28:29], vcc, s[28:29]
	s_andn2_b64 exec, exec, s[28:29]
	s_cbranch_execnz .LBB6_613
; %bb.614:                              ;   in Loop: Header=BB6_555 Depth=1
	s_or_b64 exec, exec, s[28:29]
.LBB6_615:                              ;   in Loop: Header=BB6_555 Depth=1
	s_or_b64 exec, exec, s[26:27]
.LBB6_616:                              ;   in Loop: Header=BB6_555 Depth=1
	s_or_b64 exec, exec, s[24:25]
	global_load_dwordx2 v[27:28], v26, s[6:7] offset:40
	global_load_dwordx4 v[22:25], v26, s[6:7]
	v_readfirstlane_b32 s24, v2
	v_readfirstlane_b32 s25, v3
	s_mov_b64 s[26:27], exec
	s_waitcnt vmcnt(1)
	v_readfirstlane_b32 s28, v27
	v_readfirstlane_b32 s29, v28
	s_and_b64 s[28:29], s[24:25], s[28:29]
	s_mul_i32 s15, s29, 24
	s_mul_hi_u32 vcc_lo, s28, 24
	s_mul_i32 vcc_hi, s28, 24
	s_add_i32 s15, vcc_lo, s15
	v_mov_b32_e32 v2, s15
	s_waitcnt vmcnt(0)
	v_add_co_u32_e32 v27, vcc, vcc_hi, v22
	v_addc_co_u32_e32 v28, vcc, v23, v2, vcc
	s_and_saveexec_b64 vcc, s[4:5]
	s_cbranch_execz .LBB6_618
; %bb.617:                              ;   in Loop: Header=BB6_555 Depth=1
	v_mov_b32_e32 v2, s26
	v_mov_b32_e32 v3, s27
	global_store_dwordx4 v[27:28], v[2:5], off offset:8
.LBB6_618:                              ;   in Loop: Header=BB6_555 Depth=1
	s_or_b64 exec, exec, vcc
	s_lshl_b64 s[26:27], s[28:29], 12
	v_mov_b32_e32 v2, s27
	v_add_co_u32_e32 v24, vcc, s26, v24
	v_addc_co_u32_e32 v29, vcc, v25, v2, vcc
	v_cmp_gt_u64_e64 vcc, s[20:21], 56
	v_or_b32_e32 v2, 2, v6
	s_lshl_b32 s15, s22, 2
	v_cndmask_b32_e32 v2, v2, v6, vcc
	s_add_i32 s15, s15, 28
	s_and_b32 s15, s15, 0x1e0
	v_and_b32_e32 v2, 0xffffff1f, v2
	v_or_b32_e32 v6, s15, v2
	v_readfirstlane_b32 s26, v24
	v_readfirstlane_b32 s27, v29
	s_nop 4
	global_store_dwordx4 v31, v[6:9], s[26:27]
	global_store_dwordx4 v31, v[10:13], s[26:27] offset:16
	global_store_dwordx4 v31, v[14:17], s[26:27] offset:32
	;; [unrolled: 1-line block ×3, first 2 shown]
	s_and_saveexec_b64 s[26:27], s[4:5]
	s_cbranch_execz .LBB6_626
; %bb.619:                              ;   in Loop: Header=BB6_555 Depth=1
	global_load_dwordx2 v[10:11], v26, s[6:7] offset:32 glc
	global_load_dwordx2 v[2:3], v26, s[6:7] offset:40
	v_mov_b32_e32 v8, s24
	v_mov_b32_e32 v9, s25
	s_waitcnt vmcnt(0)
	v_readfirstlane_b32 s28, v2
	v_readfirstlane_b32 s29, v3
	s_and_b64 s[28:29], s[28:29], s[24:25]
	s_mul_i32 s15, s29, 24
	s_mul_hi_u32 s29, s28, 24
	s_mul_i32 s28, s28, 24
	s_add_i32 s15, s29, s15
	v_mov_b32_e32 v3, s15
	v_add_co_u32_e32 v2, vcc, s28, v22
	v_addc_co_u32_e32 v3, vcc, v23, v3, vcc
	global_store_dwordx2 v[2:3], v[10:11], off
	s_waitcnt vmcnt(0)
	global_atomic_cmpswap_x2 v[8:9], v26, v[8:11], s[6:7] offset:32 glc
	s_waitcnt vmcnt(0)
	v_cmp_ne_u64_e32 vcc, v[8:9], v[10:11]
	s_and_saveexec_b64 s[28:29], vcc
	s_cbranch_execz .LBB6_622
; %bb.620:                              ;   in Loop: Header=BB6_555 Depth=1
	s_mov_b64 s[30:31], 0
.LBB6_621:                              ;   Parent Loop BB6_555 Depth=1
                                        ; =>  This Inner Loop Header: Depth=2
	s_sleep 1
	global_store_dwordx2 v[2:3], v[8:9], off
	v_mov_b32_e32 v6, s24
	v_mov_b32_e32 v7, s25
	s_waitcnt vmcnt(0)
	global_atomic_cmpswap_x2 v[6:7], v26, v[6:9], s[6:7] offset:32 glc
	s_waitcnt vmcnt(0)
	v_cmp_eq_u64_e32 vcc, v[6:7], v[8:9]
	v_mov_b32_e32 v9, v7
	s_or_b64 s[30:31], vcc, s[30:31]
	v_mov_b32_e32 v8, v6
	s_andn2_b64 exec, exec, s[30:31]
	s_cbranch_execnz .LBB6_621
.LBB6_622:                              ;   in Loop: Header=BB6_555 Depth=1
	s_or_b64 exec, exec, s[28:29]
	global_load_dwordx2 v[2:3], v26, s[6:7] offset:16
	s_mov_b64 s[30:31], exec
	v_mbcnt_lo_u32_b32 v6, s30, 0
	v_mbcnt_hi_u32_b32 v6, s31, v6
	v_cmp_eq_u32_e32 vcc, 0, v6
	s_and_saveexec_b64 s[28:29], vcc
	s_cbranch_execz .LBB6_624
; %bb.623:                              ;   in Loop: Header=BB6_555 Depth=1
	s_bcnt1_i32_b64 s15, s[30:31]
	v_mov_b32_e32 v25, s15
	s_waitcnt vmcnt(0)
	global_atomic_add_x2 v[2:3], v[25:26], off offset:8
.LBB6_624:                              ;   in Loop: Header=BB6_555 Depth=1
	s_or_b64 exec, exec, s[28:29]
	s_waitcnt vmcnt(0)
	global_load_dwordx2 v[6:7], v[2:3], off offset:16
	s_waitcnt vmcnt(0)
	v_cmp_eq_u64_e32 vcc, 0, v[6:7]
	s_cbranch_vccnz .LBB6_626
; %bb.625:                              ;   in Loop: Header=BB6_555 Depth=1
	global_load_dword v25, v[2:3], off offset:24
	s_waitcnt vmcnt(0)
	v_and_b32_e32 v2, 0xffffff, v25
	v_readfirstlane_b32 m0, v2
	global_store_dwordx2 v[6:7], v[25:26], off
	s_sendmsg sendmsg(MSG_INTERRUPT)
.LBB6_626:                              ;   in Loop: Header=BB6_555 Depth=1
	s_or_b64 exec, exec, s[26:27]
	v_add_co_u32_e32 v2, vcc, v24, v31
	v_addc_co_u32_e32 v3, vcc, 0, v29, vcc
	s_branch .LBB6_630
.LBB6_627:                              ;   in Loop: Header=BB6_630 Depth=2
	s_or_b64 exec, exec, s[26:27]
	v_readfirstlane_b32 s15, v6
	s_cmp_eq_u32 s15, 0
	s_cbranch_scc1 .LBB6_629
; %bb.628:                              ;   in Loop: Header=BB6_630 Depth=2
	s_sleep 1
	s_cbranch_execnz .LBB6_630
	s_branch .LBB6_632
.LBB6_629:                              ;   in Loop: Header=BB6_555 Depth=1
	s_branch .LBB6_632
.LBB6_630:                              ;   Parent Loop BB6_555 Depth=1
                                        ; =>  This Inner Loop Header: Depth=2
	v_mov_b32_e32 v6, 1
	s_and_saveexec_b64 s[26:27], s[4:5]
	s_cbranch_execz .LBB6_627
; %bb.631:                              ;   in Loop: Header=BB6_630 Depth=2
	global_load_dword v6, v[27:28], off offset:20 glc
	s_waitcnt vmcnt(0)
	buffer_wbinvl1_vol
	v_and_b32_e32 v6, 1, v6
	s_branch .LBB6_627
.LBB6_632:                              ;   in Loop: Header=BB6_555 Depth=1
	global_load_dwordx4 v[6:9], v[2:3], off
	s_and_saveexec_b64 s[26:27], s[4:5]
	s_cbranch_execz .LBB6_554
; %bb.633:                              ;   in Loop: Header=BB6_555 Depth=1
	global_load_dwordx2 v[2:3], v26, s[6:7] offset:40
	global_load_dwordx2 v[12:13], v26, s[6:7] offset:24 glc
	global_load_dwordx2 v[14:15], v26, s[6:7]
	s_waitcnt vmcnt(3)
	v_mov_b32_e32 v9, s25
	s_waitcnt vmcnt(2)
	v_add_co_u32_e32 v10, vcc, 1, v2
	v_addc_co_u32_e32 v11, vcc, 0, v3, vcc
	v_add_co_u32_e32 v8, vcc, s24, v10
	v_addc_co_u32_e32 v9, vcc, v11, v9, vcc
	v_cmp_eq_u64_e32 vcc, 0, v[8:9]
	v_cndmask_b32_e32 v9, v9, v11, vcc
	v_cndmask_b32_e32 v8, v8, v10, vcc
	v_and_b32_e32 v3, v9, v3
	v_and_b32_e32 v2, v8, v2
	v_mul_lo_u32 v3, v3, 24
	v_mul_hi_u32 v11, v2, 24
	v_mul_lo_u32 v2, v2, 24
	s_waitcnt vmcnt(1)
	v_mov_b32_e32 v10, v12
	v_add_u32_e32 v3, v11, v3
	s_waitcnt vmcnt(0)
	v_add_co_u32_e32 v2, vcc, v14, v2
	v_addc_co_u32_e32 v3, vcc, v15, v3, vcc
	global_store_dwordx2 v[2:3], v[12:13], off
	v_mov_b32_e32 v11, v13
	s_waitcnt vmcnt(0)
	global_atomic_cmpswap_x2 v[10:11], v26, v[8:11], s[6:7] offset:24 glc
	s_waitcnt vmcnt(0)
	v_cmp_ne_u64_e32 vcc, v[10:11], v[12:13]
	s_and_b64 exec, exec, vcc
	s_cbranch_execz .LBB6_554
; %bb.634:                              ;   in Loop: Header=BB6_555 Depth=1
	s_mov_b64 s[4:5], 0
.LBB6_635:                              ;   Parent Loop BB6_555 Depth=1
                                        ; =>  This Inner Loop Header: Depth=2
	s_sleep 1
	global_store_dwordx2 v[2:3], v[10:11], off
	s_waitcnt vmcnt(0)
	global_atomic_cmpswap_x2 v[12:13], v26, v[8:11], s[6:7] offset:24 glc
	s_waitcnt vmcnt(0)
	v_cmp_eq_u64_e32 vcc, v[12:13], v[10:11]
	v_mov_b32_e32 v10, v12
	s_or_b64 s[4:5], vcc, s[4:5]
	v_mov_b32_e32 v11, v13
	s_andn2_b64 exec, exec, s[4:5]
	s_cbranch_execnz .LBB6_635
	s_branch .LBB6_554
.LBB6_636:
	s_branch .LBB6_664
.LBB6_637:
	s_cbranch_execz .LBB6_664
; %bb.638:
	v_readfirstlane_b32 s4, v32
	s_waitcnt vmcnt(0)
	v_mov_b32_e32 v8, 0
	v_mov_b32_e32 v9, 0
	v_cmp_eq_u32_e64 s[4:5], s4, v32
	s_and_saveexec_b64 s[18:19], s[4:5]
	s_cbranch_execz .LBB6_644
; %bb.639:
	v_mov_b32_e32 v2, 0
	global_load_dwordx2 v[5:6], v2, s[6:7] offset:24 glc
	s_waitcnt vmcnt(0)
	buffer_wbinvl1_vol
	global_load_dwordx2 v[3:4], v2, s[6:7] offset:40
	global_load_dwordx2 v[7:8], v2, s[6:7]
	s_waitcnt vmcnt(1)
	v_and_b32_e32 v3, v3, v5
	v_and_b32_e32 v4, v4, v6
	v_mul_lo_u32 v4, v4, 24
	v_mul_hi_u32 v9, v3, 24
	v_mul_lo_u32 v3, v3, 24
	v_add_u32_e32 v4, v9, v4
	s_waitcnt vmcnt(0)
	v_add_co_u32_e32 v3, vcc, v7, v3
	v_addc_co_u32_e32 v4, vcc, v8, v4, vcc
	global_load_dwordx2 v[3:4], v[3:4], off glc
	s_waitcnt vmcnt(0)
	global_atomic_cmpswap_x2 v[8:9], v2, v[3:6], s[6:7] offset:24 glc
	s_waitcnt vmcnt(0)
	buffer_wbinvl1_vol
	v_cmp_ne_u64_e32 vcc, v[8:9], v[5:6]
	s_and_saveexec_b64 s[20:21], vcc
	s_cbranch_execz .LBB6_643
; %bb.640:
	s_mov_b64 s[22:23], 0
.LBB6_641:                              ; =>This Inner Loop Header: Depth=1
	s_sleep 1
	global_load_dwordx2 v[3:4], v2, s[6:7] offset:40
	global_load_dwordx2 v[10:11], v2, s[6:7]
	v_mov_b32_e32 v5, v8
	v_mov_b32_e32 v6, v9
	s_waitcnt vmcnt(1)
	v_and_b32_e32 v3, v3, v5
	s_waitcnt vmcnt(0)
	v_mad_u64_u32 v[7:8], s[24:25], v3, 24, v[10:11]
	v_and_b32_e32 v4, v4, v6
	v_mov_b32_e32 v3, v8
	v_mad_u64_u32 v[3:4], s[24:25], v4, 24, v[3:4]
	v_mov_b32_e32 v8, v3
	global_load_dwordx2 v[3:4], v[7:8], off glc
	s_waitcnt vmcnt(0)
	global_atomic_cmpswap_x2 v[8:9], v2, v[3:6], s[6:7] offset:24 glc
	s_waitcnt vmcnt(0)
	buffer_wbinvl1_vol
	v_cmp_eq_u64_e32 vcc, v[8:9], v[5:6]
	s_or_b64 s[22:23], vcc, s[22:23]
	s_andn2_b64 exec, exec, s[22:23]
	s_cbranch_execnz .LBB6_641
; %bb.642:
	s_or_b64 exec, exec, s[22:23]
.LBB6_643:
	s_or_b64 exec, exec, s[20:21]
.LBB6_644:
	s_or_b64 exec, exec, s[18:19]
	v_mov_b32_e32 v2, 0
	global_load_dwordx2 v[10:11], v2, s[6:7] offset:40
	global_load_dwordx4 v[4:7], v2, s[6:7]
	v_readfirstlane_b32 s18, v8
	v_readfirstlane_b32 s19, v9
	s_mov_b64 s[20:21], exec
	s_waitcnt vmcnt(1)
	v_readfirstlane_b32 s22, v10
	v_readfirstlane_b32 s23, v11
	s_and_b64 s[22:23], s[18:19], s[22:23]
	s_mul_i32 s15, s23, 24
	s_mul_hi_u32 s24, s22, 24
	s_mul_i32 s25, s22, 24
	s_add_i32 s15, s24, s15
	v_mov_b32_e32 v3, s15
	s_waitcnt vmcnt(0)
	v_add_co_u32_e32 v8, vcc, s25, v4
	v_addc_co_u32_e32 v9, vcc, v5, v3, vcc
	s_and_saveexec_b64 s[24:25], s[4:5]
	s_cbranch_execz .LBB6_646
; %bb.645:
	v_mov_b32_e32 v10, s20
	v_mov_b32_e32 v11, s21
	v_mov_b32_e32 v12, 2
	v_mov_b32_e32 v13, 1
	global_store_dwordx4 v[8:9], v[10:13], off offset:8
.LBB6_646:
	s_or_b64 exec, exec, s[24:25]
	s_lshl_b64 s[20:21], s[22:23], 12
	v_mov_b32_e32 v3, s21
	v_add_co_u32_e32 v6, vcc, s20, v6
	v_addc_co_u32_e32 v7, vcc, v7, v3, vcc
	s_movk_i32 s15, 0xff1d
	v_and_or_b32 v0, v0, s15, 34
	s_mov_b32 s20, 0
	v_mov_b32_e32 v3, v2
	v_readfirstlane_b32 s24, v6
	v_readfirstlane_b32 s25, v7
	s_mov_b32 s21, s20
	s_mov_b32 s22, s20
	;; [unrolled: 1-line block ×3, first 2 shown]
	s_nop 1
	global_store_dwordx4 v31, v[0:3], s[24:25]
	s_nop 0
	v_mov_b32_e32 v0, s20
	v_mov_b32_e32 v1, s21
	;; [unrolled: 1-line block ×4, first 2 shown]
	global_store_dwordx4 v31, v[0:3], s[24:25] offset:16
	global_store_dwordx4 v31, v[0:3], s[24:25] offset:32
	;; [unrolled: 1-line block ×3, first 2 shown]
	s_and_saveexec_b64 s[20:21], s[4:5]
	s_cbranch_execz .LBB6_654
; %bb.647:
	v_mov_b32_e32 v6, 0
	global_load_dwordx2 v[12:13], v6, s[6:7] offset:32 glc
	global_load_dwordx2 v[0:1], v6, s[6:7] offset:40
	v_mov_b32_e32 v10, s18
	v_mov_b32_e32 v11, s19
	s_waitcnt vmcnt(0)
	v_readfirstlane_b32 s22, v0
	v_readfirstlane_b32 s23, v1
	s_and_b64 s[22:23], s[22:23], s[18:19]
	s_mul_i32 s15, s23, 24
	s_mul_hi_u32 s23, s22, 24
	s_mul_i32 s22, s22, 24
	s_add_i32 s15, s23, s15
	v_mov_b32_e32 v0, s15
	v_add_co_u32_e32 v4, vcc, s22, v4
	v_addc_co_u32_e32 v5, vcc, v5, v0, vcc
	global_store_dwordx2 v[4:5], v[12:13], off
	s_waitcnt vmcnt(0)
	global_atomic_cmpswap_x2 v[2:3], v6, v[10:13], s[6:7] offset:32 glc
	s_waitcnt vmcnt(0)
	v_cmp_ne_u64_e32 vcc, v[2:3], v[12:13]
	s_and_saveexec_b64 s[22:23], vcc
	s_cbranch_execz .LBB6_650
; %bb.648:
	s_mov_b64 s[24:25], 0
.LBB6_649:                              ; =>This Inner Loop Header: Depth=1
	s_sleep 1
	global_store_dwordx2 v[4:5], v[2:3], off
	v_mov_b32_e32 v0, s18
	v_mov_b32_e32 v1, s19
	s_waitcnt vmcnt(0)
	global_atomic_cmpswap_x2 v[0:1], v6, v[0:3], s[6:7] offset:32 glc
	s_waitcnt vmcnt(0)
	v_cmp_eq_u64_e32 vcc, v[0:1], v[2:3]
	v_mov_b32_e32 v3, v1
	s_or_b64 s[24:25], vcc, s[24:25]
	v_mov_b32_e32 v2, v0
	s_andn2_b64 exec, exec, s[24:25]
	s_cbranch_execnz .LBB6_649
.LBB6_650:
	s_or_b64 exec, exec, s[22:23]
	v_mov_b32_e32 v3, 0
	global_load_dwordx2 v[0:1], v3, s[6:7] offset:16
	s_mov_b64 s[22:23], exec
	v_mbcnt_lo_u32_b32 v2, s22, 0
	v_mbcnt_hi_u32_b32 v2, s23, v2
	v_cmp_eq_u32_e32 vcc, 0, v2
	s_and_saveexec_b64 s[24:25], vcc
	s_cbranch_execz .LBB6_652
; %bb.651:
	s_bcnt1_i32_b64 s15, s[22:23]
	v_mov_b32_e32 v2, s15
	s_waitcnt vmcnt(0)
	global_atomic_add_x2 v[0:1], v[2:3], off offset:8
.LBB6_652:
	s_or_b64 exec, exec, s[24:25]
	s_waitcnt vmcnt(0)
	global_load_dwordx2 v[2:3], v[0:1], off offset:16
	s_waitcnt vmcnt(0)
	v_cmp_eq_u64_e32 vcc, 0, v[2:3]
	s_cbranch_vccnz .LBB6_654
; %bb.653:
	global_load_dword v0, v[0:1], off offset:24
	v_mov_b32_e32 v1, 0
	s_waitcnt vmcnt(0)
	global_store_dwordx2 v[2:3], v[0:1], off
	v_and_b32_e32 v0, 0xffffff, v0
	v_readfirstlane_b32 m0, v0
	s_sendmsg sendmsg(MSG_INTERRUPT)
.LBB6_654:
	s_or_b64 exec, exec, s[20:21]
	s_branch .LBB6_658
.LBB6_655:                              ;   in Loop: Header=BB6_658 Depth=1
	s_or_b64 exec, exec, s[20:21]
	v_readfirstlane_b32 s15, v0
	s_cmp_eq_u32 s15, 0
	s_cbranch_scc1 .LBB6_657
; %bb.656:                              ;   in Loop: Header=BB6_658 Depth=1
	s_sleep 1
	s_cbranch_execnz .LBB6_658
	s_branch .LBB6_660
.LBB6_657:
	s_branch .LBB6_660
.LBB6_658:                              ; =>This Inner Loop Header: Depth=1
	v_mov_b32_e32 v0, 1
	s_and_saveexec_b64 s[20:21], s[4:5]
	s_cbranch_execz .LBB6_655
; %bb.659:                              ;   in Loop: Header=BB6_658 Depth=1
	global_load_dword v0, v[8:9], off offset:20 glc
	s_waitcnt vmcnt(0)
	buffer_wbinvl1_vol
	v_and_b32_e32 v0, 1, v0
	s_branch .LBB6_655
.LBB6_660:
	s_and_saveexec_b64 s[20:21], s[4:5]
	s_cbranch_execz .LBB6_663
; %bb.661:
	v_mov_b32_e32 v6, 0
	global_load_dwordx2 v[2:3], v6, s[6:7] offset:40
	global_load_dwordx2 v[7:8], v6, s[6:7] offset:24 glc
	global_load_dwordx2 v[4:5], v6, s[6:7]
	v_mov_b32_e32 v1, s19
	s_mov_b64 s[4:5], 0
	s_waitcnt vmcnt(2)
	v_add_co_u32_e32 v9, vcc, 1, v2
	v_addc_co_u32_e32 v10, vcc, 0, v3, vcc
	v_add_co_u32_e32 v0, vcc, s18, v9
	v_addc_co_u32_e32 v1, vcc, v10, v1, vcc
	v_cmp_eq_u64_e32 vcc, 0, v[0:1]
	v_cndmask_b32_e32 v1, v1, v10, vcc
	v_cndmask_b32_e32 v0, v0, v9, vcc
	v_and_b32_e32 v3, v1, v3
	v_and_b32_e32 v2, v0, v2
	v_mul_lo_u32 v3, v3, 24
	v_mul_hi_u32 v9, v2, 24
	v_mul_lo_u32 v10, v2, 24
	s_waitcnt vmcnt(1)
	v_mov_b32_e32 v2, v7
	v_add_u32_e32 v3, v9, v3
	s_waitcnt vmcnt(0)
	v_add_co_u32_e32 v4, vcc, v4, v10
	v_addc_co_u32_e32 v5, vcc, v5, v3, vcc
	global_store_dwordx2 v[4:5], v[7:8], off
	v_mov_b32_e32 v3, v8
	s_waitcnt vmcnt(0)
	global_atomic_cmpswap_x2 v[2:3], v6, v[0:3], s[6:7] offset:24 glc
	s_waitcnt vmcnt(0)
	v_cmp_ne_u64_e32 vcc, v[2:3], v[7:8]
	s_and_b64 exec, exec, vcc
	s_cbranch_execz .LBB6_663
.LBB6_662:                              ; =>This Inner Loop Header: Depth=1
	s_sleep 1
	global_store_dwordx2 v[4:5], v[2:3], off
	s_waitcnt vmcnt(0)
	global_atomic_cmpswap_x2 v[7:8], v6, v[0:3], s[6:7] offset:24 glc
	s_waitcnt vmcnt(0)
	v_cmp_eq_u64_e32 vcc, v[7:8], v[2:3]
	v_mov_b32_e32 v2, v7
	s_or_b64 s[4:5], vcc, s[4:5]
	v_mov_b32_e32 v3, v8
	s_andn2_b64 exec, exec, s[4:5]
	s_cbranch_execnz .LBB6_662
.LBB6_663:
	s_or_b64 exec, exec, s[20:21]
.LBB6_664:
	v_readfirstlane_b32 s4, v32
	s_waitcnt vmcnt(0)
	v_mov_b32_e32 v5, 0
	v_mov_b32_e32 v6, 0
	v_cmp_eq_u32_e64 s[4:5], s4, v32
	s_and_saveexec_b64 s[18:19], s[4:5]
	s_cbranch_execz .LBB6_670
; %bb.665:
	v_mov_b32_e32 v0, 0
	global_load_dwordx2 v[3:4], v0, s[6:7] offset:24 glc
	s_waitcnt vmcnt(0)
	buffer_wbinvl1_vol
	global_load_dwordx2 v[1:2], v0, s[6:7] offset:40
	global_load_dwordx2 v[5:6], v0, s[6:7]
	s_waitcnt vmcnt(1)
	v_and_b32_e32 v1, v1, v3
	v_and_b32_e32 v2, v2, v4
	v_mul_lo_u32 v2, v2, 24
	v_mul_hi_u32 v7, v1, 24
	v_mul_lo_u32 v1, v1, 24
	v_add_u32_e32 v2, v7, v2
	s_waitcnt vmcnt(0)
	v_add_co_u32_e32 v1, vcc, v5, v1
	v_addc_co_u32_e32 v2, vcc, v6, v2, vcc
	global_load_dwordx2 v[1:2], v[1:2], off glc
	s_waitcnt vmcnt(0)
	global_atomic_cmpswap_x2 v[5:6], v0, v[1:4], s[6:7] offset:24 glc
	s_waitcnt vmcnt(0)
	buffer_wbinvl1_vol
	v_cmp_ne_u64_e32 vcc, v[5:6], v[3:4]
	s_and_saveexec_b64 s[20:21], vcc
	s_cbranch_execz .LBB6_669
; %bb.666:
	s_mov_b64 s[22:23], 0
.LBB6_667:                              ; =>This Inner Loop Header: Depth=1
	s_sleep 1
	global_load_dwordx2 v[1:2], v0, s[6:7] offset:40
	global_load_dwordx2 v[7:8], v0, s[6:7]
	v_mov_b32_e32 v3, v5
	v_mov_b32_e32 v4, v6
	s_waitcnt vmcnt(1)
	v_and_b32_e32 v1, v1, v3
	s_waitcnt vmcnt(0)
	v_mad_u64_u32 v[5:6], s[24:25], v1, 24, v[7:8]
	v_and_b32_e32 v2, v2, v4
	v_mov_b32_e32 v1, v6
	v_mad_u64_u32 v[1:2], s[24:25], v2, 24, v[1:2]
	v_mov_b32_e32 v6, v1
	global_load_dwordx2 v[1:2], v[5:6], off glc
	s_waitcnt vmcnt(0)
	global_atomic_cmpswap_x2 v[5:6], v0, v[1:4], s[6:7] offset:24 glc
	s_waitcnt vmcnt(0)
	buffer_wbinvl1_vol
	v_cmp_eq_u64_e32 vcc, v[5:6], v[3:4]
	s_or_b64 s[22:23], vcc, s[22:23]
	s_andn2_b64 exec, exec, s[22:23]
	s_cbranch_execnz .LBB6_667
; %bb.668:
	s_or_b64 exec, exec, s[22:23]
.LBB6_669:
	s_or_b64 exec, exec, s[20:21]
.LBB6_670:
	s_or_b64 exec, exec, s[18:19]
	v_mov_b32_e32 v4, 0
	global_load_dwordx2 v[7:8], v4, s[6:7] offset:40
	global_load_dwordx4 v[0:3], v4, s[6:7]
	v_readfirstlane_b32 s18, v5
	v_readfirstlane_b32 s19, v6
	s_mov_b64 s[20:21], exec
	s_waitcnt vmcnt(1)
	v_readfirstlane_b32 s22, v7
	v_readfirstlane_b32 s23, v8
	s_and_b64 s[22:23], s[18:19], s[22:23]
	s_mul_i32 s15, s23, 24
	s_mul_hi_u32 s24, s22, 24
	s_mul_i32 s25, s22, 24
	s_add_i32 s15, s24, s15
	v_mov_b32_e32 v5, s15
	s_waitcnt vmcnt(0)
	v_add_co_u32_e32 v7, vcc, s25, v0
	v_addc_co_u32_e32 v8, vcc, v1, v5, vcc
	s_and_saveexec_b64 s[24:25], s[4:5]
	s_cbranch_execz .LBB6_672
; %bb.671:
	v_mov_b32_e32 v9, s20
	v_mov_b32_e32 v10, s21
	;; [unrolled: 1-line block ×4, first 2 shown]
	global_store_dwordx4 v[7:8], v[9:12], off offset:8
.LBB6_672:
	s_or_b64 exec, exec, s[24:25]
	s_lshl_b64 s[20:21], s[22:23], 12
	v_mov_b32_e32 v5, s21
	v_add_co_u32_e32 v2, vcc, s20, v2
	v_addc_co_u32_e32 v11, vcc, v3, v5, vcc
	s_mov_b32 s20, 0
	v_mov_b32_e32 v3, 33
	v_mov_b32_e32 v5, v4
	;; [unrolled: 1-line block ×3, first 2 shown]
	v_readfirstlane_b32 s24, v2
	v_readfirstlane_b32 s25, v11
	v_add_co_u32_e32 v9, vcc, v2, v31
	s_mov_b32 s21, s20
	s_mov_b32 s22, s20
	;; [unrolled: 1-line block ×3, first 2 shown]
	s_nop 0
	global_store_dwordx4 v31, v[3:6], s[24:25]
	v_mov_b32_e32 v2, s20
	v_addc_co_u32_e32 v10, vcc, 0, v11, vcc
	v_mov_b32_e32 v3, s21
	v_mov_b32_e32 v4, s22
	;; [unrolled: 1-line block ×3, first 2 shown]
	global_store_dwordx4 v31, v[2:5], s[24:25] offset:16
	global_store_dwordx4 v31, v[2:5], s[24:25] offset:32
	;; [unrolled: 1-line block ×3, first 2 shown]
	s_and_saveexec_b64 s[20:21], s[4:5]
	s_cbranch_execz .LBB6_680
; %bb.673:
	v_mov_b32_e32 v6, 0
	global_load_dwordx2 v[13:14], v6, s[6:7] offset:32 glc
	global_load_dwordx2 v[2:3], v6, s[6:7] offset:40
	v_mov_b32_e32 v11, s18
	v_mov_b32_e32 v12, s19
	s_waitcnt vmcnt(0)
	v_readfirstlane_b32 s22, v2
	v_readfirstlane_b32 s23, v3
	s_and_b64 s[22:23], s[22:23], s[18:19]
	s_mul_i32 s15, s23, 24
	s_mul_hi_u32 s23, s22, 24
	s_mul_i32 s22, s22, 24
	s_add_i32 s15, s23, s15
	v_mov_b32_e32 v2, s15
	v_add_co_u32_e32 v4, vcc, s22, v0
	v_addc_co_u32_e32 v5, vcc, v1, v2, vcc
	global_store_dwordx2 v[4:5], v[13:14], off
	s_waitcnt vmcnt(0)
	global_atomic_cmpswap_x2 v[2:3], v6, v[11:14], s[6:7] offset:32 glc
	s_waitcnt vmcnt(0)
	v_cmp_ne_u64_e32 vcc, v[2:3], v[13:14]
	s_and_saveexec_b64 s[22:23], vcc
	s_cbranch_execz .LBB6_676
; %bb.674:
	s_mov_b64 s[24:25], 0
.LBB6_675:                              ; =>This Inner Loop Header: Depth=1
	s_sleep 1
	global_store_dwordx2 v[4:5], v[2:3], off
	v_mov_b32_e32 v0, s18
	v_mov_b32_e32 v1, s19
	s_waitcnt vmcnt(0)
	global_atomic_cmpswap_x2 v[0:1], v6, v[0:3], s[6:7] offset:32 glc
	s_waitcnt vmcnt(0)
	v_cmp_eq_u64_e32 vcc, v[0:1], v[2:3]
	v_mov_b32_e32 v3, v1
	s_or_b64 s[24:25], vcc, s[24:25]
	v_mov_b32_e32 v2, v0
	s_andn2_b64 exec, exec, s[24:25]
	s_cbranch_execnz .LBB6_675
.LBB6_676:
	s_or_b64 exec, exec, s[22:23]
	v_mov_b32_e32 v3, 0
	global_load_dwordx2 v[0:1], v3, s[6:7] offset:16
	s_mov_b64 s[22:23], exec
	v_mbcnt_lo_u32_b32 v2, s22, 0
	v_mbcnt_hi_u32_b32 v2, s23, v2
	v_cmp_eq_u32_e32 vcc, 0, v2
	s_and_saveexec_b64 s[24:25], vcc
	s_cbranch_execz .LBB6_678
; %bb.677:
	s_bcnt1_i32_b64 s15, s[22:23]
	v_mov_b32_e32 v2, s15
	s_waitcnt vmcnt(0)
	global_atomic_add_x2 v[0:1], v[2:3], off offset:8
.LBB6_678:
	s_or_b64 exec, exec, s[24:25]
	s_waitcnt vmcnt(0)
	global_load_dwordx2 v[2:3], v[0:1], off offset:16
	s_waitcnt vmcnt(0)
	v_cmp_eq_u64_e32 vcc, 0, v[2:3]
	s_cbranch_vccnz .LBB6_680
; %bb.679:
	global_load_dword v0, v[0:1], off offset:24
	v_mov_b32_e32 v1, 0
	s_waitcnt vmcnt(0)
	global_store_dwordx2 v[2:3], v[0:1], off
	v_and_b32_e32 v0, 0xffffff, v0
	v_readfirstlane_b32 m0, v0
	s_sendmsg sendmsg(MSG_INTERRUPT)
.LBB6_680:
	s_or_b64 exec, exec, s[20:21]
	s_branch .LBB6_684
.LBB6_681:                              ;   in Loop: Header=BB6_684 Depth=1
	s_or_b64 exec, exec, s[20:21]
	v_readfirstlane_b32 s15, v0
	s_cmp_eq_u32 s15, 0
	s_cbranch_scc1 .LBB6_683
; %bb.682:                              ;   in Loop: Header=BB6_684 Depth=1
	s_sleep 1
	s_cbranch_execnz .LBB6_684
	s_branch .LBB6_686
.LBB6_683:
	s_branch .LBB6_686
.LBB6_684:                              ; =>This Inner Loop Header: Depth=1
	v_mov_b32_e32 v0, 1
	s_and_saveexec_b64 s[20:21], s[4:5]
	s_cbranch_execz .LBB6_681
; %bb.685:                              ;   in Loop: Header=BB6_684 Depth=1
	global_load_dword v0, v[7:8], off offset:20 glc
	s_waitcnt vmcnt(0)
	buffer_wbinvl1_vol
	v_and_b32_e32 v0, 1, v0
	s_branch .LBB6_681
.LBB6_686:
	global_load_dwordx2 v[0:1], v[9:10], off
	s_and_saveexec_b64 s[20:21], s[4:5]
	s_cbranch_execz .LBB6_689
; %bb.687:
	v_mov_b32_e32 v8, 0
	global_load_dwordx2 v[4:5], v8, s[6:7] offset:40
	global_load_dwordx2 v[9:10], v8, s[6:7] offset:24 glc
	global_load_dwordx2 v[6:7], v8, s[6:7]
	v_mov_b32_e32 v3, s19
	s_mov_b64 s[4:5], 0
	s_waitcnt vmcnt(2)
	v_add_co_u32_e32 v11, vcc, 1, v4
	v_addc_co_u32_e32 v12, vcc, 0, v5, vcc
	v_add_co_u32_e32 v2, vcc, s18, v11
	v_addc_co_u32_e32 v3, vcc, v12, v3, vcc
	v_cmp_eq_u64_e32 vcc, 0, v[2:3]
	v_cndmask_b32_e32 v3, v3, v12, vcc
	v_cndmask_b32_e32 v2, v2, v11, vcc
	v_and_b32_e32 v5, v3, v5
	v_and_b32_e32 v4, v2, v4
	v_mul_lo_u32 v5, v5, 24
	v_mul_hi_u32 v11, v4, 24
	v_mul_lo_u32 v12, v4, 24
	s_waitcnt vmcnt(1)
	v_mov_b32_e32 v4, v9
	v_add_u32_e32 v5, v11, v5
	s_waitcnt vmcnt(0)
	v_add_co_u32_e32 v6, vcc, v6, v12
	v_addc_co_u32_e32 v7, vcc, v7, v5, vcc
	global_store_dwordx2 v[6:7], v[9:10], off
	v_mov_b32_e32 v5, v10
	s_waitcnt vmcnt(0)
	global_atomic_cmpswap_x2 v[4:5], v8, v[2:5], s[6:7] offset:24 glc
	s_waitcnt vmcnt(0)
	v_cmp_ne_u64_e32 vcc, v[4:5], v[9:10]
	s_and_b64 exec, exec, vcc
	s_cbranch_execz .LBB6_689
.LBB6_688:                              ; =>This Inner Loop Header: Depth=1
	s_sleep 1
	global_store_dwordx2 v[6:7], v[4:5], off
	s_waitcnt vmcnt(0)
	global_atomic_cmpswap_x2 v[9:10], v8, v[2:5], s[6:7] offset:24 glc
	s_waitcnt vmcnt(0)
	v_cmp_eq_u64_e32 vcc, v[9:10], v[4:5]
	v_mov_b32_e32 v4, v9
	s_or_b64 s[4:5], vcc, s[4:5]
	v_mov_b32_e32 v5, v10
	s_andn2_b64 exec, exec, s[4:5]
	s_cbranch_execnz .LBB6_688
.LBB6_689:
	s_or_b64 exec, exec, s[20:21]
	s_and_b64 vcc, exec, s[16:17]
	s_cbranch_vccz .LBB6_774
; %bb.690:
	s_waitcnt vmcnt(0)
	v_and_b32_e32 v33, 2, v0
	v_mov_b32_e32 v28, 0
	v_and_b32_e32 v2, -3, v0
	v_mov_b32_e32 v3, v1
	s_mov_b64 s[20:21], 3
	v_mov_b32_e32 v6, 2
	v_mov_b32_e32 v7, 1
	s_getpc_b64 s[18:19]
	s_add_u32 s18, s18, .str.6@rel32@lo+4
	s_addc_u32 s19, s19, .str.6@rel32@hi+12
	s_branch .LBB6_692
.LBB6_691:                              ;   in Loop: Header=BB6_692 Depth=1
	s_or_b64 exec, exec, s[26:27]
	s_sub_u32 s20, s20, s22
	s_subb_u32 s21, s21, s23
	s_add_u32 s18, s18, s22
	s_addc_u32 s19, s19, s23
	s_cmp_lg_u64 s[20:21], 0
	s_cbranch_scc0 .LBB6_773
.LBB6_692:                              ; =>This Loop Header: Depth=1
                                        ;     Child Loop BB6_695 Depth 2
                                        ;     Child Loop BB6_702 Depth 2
                                        ;     Child Loop BB6_710 Depth 2
                                        ;     Child Loop BB6_718 Depth 2
                                        ;     Child Loop BB6_726 Depth 2
                                        ;     Child Loop BB6_734 Depth 2
                                        ;     Child Loop BB6_742 Depth 2
                                        ;     Child Loop BB6_750 Depth 2
                                        ;     Child Loop BB6_758 Depth 2
                                        ;     Child Loop BB6_767 Depth 2
                                        ;     Child Loop BB6_772 Depth 2
	v_cmp_lt_u64_e64 s[4:5], s[20:21], 56
	v_cmp_gt_u64_e64 s[24:25], s[20:21], 7
	s_and_b64 s[4:5], s[4:5], exec
	s_cselect_b32 s23, s21, 0
	s_cselect_b32 s22, s20, 56
	s_and_b64 vcc, exec, s[24:25]
	s_cbranch_vccnz .LBB6_697
; %bb.693:                              ;   in Loop: Header=BB6_692 Depth=1
	v_mov_b32_e32 v10, 0
	s_cmp_eq_u64 s[20:21], 0
	v_mov_b32_e32 v11, 0
	s_mov_b64 s[4:5], 0
	s_cbranch_scc1 .LBB6_696
; %bb.694:                              ;   in Loop: Header=BB6_692 Depth=1
	v_mov_b32_e32 v10, 0
	s_lshl_b64 s[24:25], s[22:23], 3
	s_mov_b64 s[26:27], 0
	v_mov_b32_e32 v11, 0
	s_mov_b64 s[28:29], s[18:19]
.LBB6_695:                              ;   Parent Loop BB6_692 Depth=1
                                        ; =>  This Inner Loop Header: Depth=2
	global_load_ubyte v4, v28, s[28:29]
	s_waitcnt vmcnt(0)
	v_and_b32_e32 v27, 0xffff, v4
	v_lshlrev_b64 v[4:5], s26, v[27:28]
	s_add_u32 s26, s26, 8
	s_addc_u32 s27, s27, 0
	s_add_u32 s28, s28, 1
	s_addc_u32 s29, s29, 0
	v_or_b32_e32 v10, v4, v10
	s_cmp_lg_u32 s24, s26
	v_or_b32_e32 v11, v5, v11
	s_cbranch_scc1 .LBB6_695
.LBB6_696:                              ;   in Loop: Header=BB6_692 Depth=1
	s_mov_b32 s15, 0
	s_andn2_b64 vcc, exec, s[4:5]
	s_mov_b64 s[4:5], s[18:19]
	s_cbranch_vccz .LBB6_698
	s_branch .LBB6_699
.LBB6_697:                              ;   in Loop: Header=BB6_692 Depth=1
                                        ; implicit-def: $vgpr10_vgpr11
                                        ; implicit-def: $sgpr15
	s_mov_b64 s[4:5], s[18:19]
.LBB6_698:                              ;   in Loop: Header=BB6_692 Depth=1
	global_load_dwordx2 v[10:11], v28, s[18:19]
	s_add_i32 s15, s22, -8
	s_add_u32 s4, s18, 8
	s_addc_u32 s5, s19, 0
.LBB6_699:                              ;   in Loop: Header=BB6_692 Depth=1
	s_cmp_gt_u32 s15, 7
	s_cbranch_scc1 .LBB6_703
; %bb.700:                              ;   in Loop: Header=BB6_692 Depth=1
	s_cmp_eq_u32 s15, 0
	s_cbranch_scc1 .LBB6_704
; %bb.701:                              ;   in Loop: Header=BB6_692 Depth=1
	v_mov_b32_e32 v12, 0
	s_mov_b64 s[24:25], 0
	v_mov_b32_e32 v13, 0
	s_mov_b64 s[26:27], 0
.LBB6_702:                              ;   Parent Loop BB6_692 Depth=1
                                        ; =>  This Inner Loop Header: Depth=2
	s_add_u32 s28, s4, s26
	s_addc_u32 s29, s5, s27
	global_load_ubyte v4, v28, s[28:29]
	s_add_u32 s26, s26, 1
	s_addc_u32 s27, s27, 0
	s_waitcnt vmcnt(0)
	v_and_b32_e32 v27, 0xffff, v4
	v_lshlrev_b64 v[4:5], s24, v[27:28]
	s_add_u32 s24, s24, 8
	s_addc_u32 s25, s25, 0
	v_or_b32_e32 v12, v4, v12
	s_cmp_lg_u32 s15, s26
	v_or_b32_e32 v13, v5, v13
	s_cbranch_scc1 .LBB6_702
	s_branch .LBB6_705
.LBB6_703:                              ;   in Loop: Header=BB6_692 Depth=1
                                        ; implicit-def: $vgpr12_vgpr13
                                        ; implicit-def: $sgpr28
	s_branch .LBB6_706
.LBB6_704:                              ;   in Loop: Header=BB6_692 Depth=1
	v_mov_b32_e32 v12, 0
	v_mov_b32_e32 v13, 0
.LBB6_705:                              ;   in Loop: Header=BB6_692 Depth=1
	s_mov_b32 s28, 0
	s_cbranch_execnz .LBB6_707
.LBB6_706:                              ;   in Loop: Header=BB6_692 Depth=1
	global_load_dwordx2 v[12:13], v28, s[4:5]
	s_add_i32 s28, s15, -8
	s_add_u32 s4, s4, 8
	s_addc_u32 s5, s5, 0
.LBB6_707:                              ;   in Loop: Header=BB6_692 Depth=1
	s_cmp_gt_u32 s28, 7
	s_cbranch_scc1 .LBB6_711
; %bb.708:                              ;   in Loop: Header=BB6_692 Depth=1
	s_cmp_eq_u32 s28, 0
	s_cbranch_scc1 .LBB6_712
; %bb.709:                              ;   in Loop: Header=BB6_692 Depth=1
	v_mov_b32_e32 v14, 0
	s_mov_b64 s[24:25], 0
	v_mov_b32_e32 v15, 0
	s_mov_b64 s[26:27], 0
.LBB6_710:                              ;   Parent Loop BB6_692 Depth=1
                                        ; =>  This Inner Loop Header: Depth=2
	s_add_u32 vcc_lo, s4, s26
	s_addc_u32 vcc_hi, s5, s27
	global_load_ubyte v4, v28, vcc
	s_add_u32 s26, s26, 1
	s_addc_u32 s27, s27, 0
	s_waitcnt vmcnt(0)
	v_and_b32_e32 v27, 0xffff, v4
	v_lshlrev_b64 v[4:5], s24, v[27:28]
	s_add_u32 s24, s24, 8
	s_addc_u32 s25, s25, 0
	v_or_b32_e32 v14, v4, v14
	s_cmp_lg_u32 s28, s26
	v_or_b32_e32 v15, v5, v15
	s_cbranch_scc1 .LBB6_710
	s_branch .LBB6_713
.LBB6_711:                              ;   in Loop: Header=BB6_692 Depth=1
                                        ; implicit-def: $sgpr15
	s_branch .LBB6_714
.LBB6_712:                              ;   in Loop: Header=BB6_692 Depth=1
	v_mov_b32_e32 v14, 0
	v_mov_b32_e32 v15, 0
.LBB6_713:                              ;   in Loop: Header=BB6_692 Depth=1
	s_mov_b32 s15, 0
	s_cbranch_execnz .LBB6_715
.LBB6_714:                              ;   in Loop: Header=BB6_692 Depth=1
	global_load_dwordx2 v[14:15], v28, s[4:5]
	s_add_i32 s15, s28, -8
	s_add_u32 s4, s4, 8
	s_addc_u32 s5, s5, 0
.LBB6_715:                              ;   in Loop: Header=BB6_692 Depth=1
	s_cmp_gt_u32 s15, 7
	s_cbranch_scc1 .LBB6_719
; %bb.716:                              ;   in Loop: Header=BB6_692 Depth=1
	s_cmp_eq_u32 s15, 0
	s_cbranch_scc1 .LBB6_720
; %bb.717:                              ;   in Loop: Header=BB6_692 Depth=1
	v_mov_b32_e32 v16, 0
	s_mov_b64 s[24:25], 0
	v_mov_b32_e32 v17, 0
	s_mov_b64 s[26:27], 0
.LBB6_718:                              ;   Parent Loop BB6_692 Depth=1
                                        ; =>  This Inner Loop Header: Depth=2
	s_add_u32 s28, s4, s26
	s_addc_u32 s29, s5, s27
	global_load_ubyte v4, v28, s[28:29]
	s_add_u32 s26, s26, 1
	s_addc_u32 s27, s27, 0
	s_waitcnt vmcnt(0)
	v_and_b32_e32 v27, 0xffff, v4
	v_lshlrev_b64 v[4:5], s24, v[27:28]
	s_add_u32 s24, s24, 8
	s_addc_u32 s25, s25, 0
	v_or_b32_e32 v16, v4, v16
	s_cmp_lg_u32 s15, s26
	v_or_b32_e32 v17, v5, v17
	s_cbranch_scc1 .LBB6_718
	s_branch .LBB6_721
.LBB6_719:                              ;   in Loop: Header=BB6_692 Depth=1
                                        ; implicit-def: $vgpr16_vgpr17
                                        ; implicit-def: $sgpr28
	s_branch .LBB6_722
.LBB6_720:                              ;   in Loop: Header=BB6_692 Depth=1
	v_mov_b32_e32 v16, 0
	v_mov_b32_e32 v17, 0
.LBB6_721:                              ;   in Loop: Header=BB6_692 Depth=1
	s_mov_b32 s28, 0
	s_cbranch_execnz .LBB6_723
.LBB6_722:                              ;   in Loop: Header=BB6_692 Depth=1
	global_load_dwordx2 v[16:17], v28, s[4:5]
	s_add_i32 s28, s15, -8
	s_add_u32 s4, s4, 8
	s_addc_u32 s5, s5, 0
.LBB6_723:                              ;   in Loop: Header=BB6_692 Depth=1
	s_cmp_gt_u32 s28, 7
	s_cbranch_scc1 .LBB6_727
; %bb.724:                              ;   in Loop: Header=BB6_692 Depth=1
	s_cmp_eq_u32 s28, 0
	s_cbranch_scc1 .LBB6_728
; %bb.725:                              ;   in Loop: Header=BB6_692 Depth=1
	v_mov_b32_e32 v18, 0
	s_mov_b64 s[24:25], 0
	v_mov_b32_e32 v19, 0
	s_mov_b64 s[26:27], 0
.LBB6_726:                              ;   Parent Loop BB6_692 Depth=1
                                        ; =>  This Inner Loop Header: Depth=2
	s_add_u32 vcc_lo, s4, s26
	s_addc_u32 vcc_hi, s5, s27
	global_load_ubyte v4, v28, vcc
	s_add_u32 s26, s26, 1
	s_addc_u32 s27, s27, 0
	s_waitcnt vmcnt(0)
	v_and_b32_e32 v27, 0xffff, v4
	v_lshlrev_b64 v[4:5], s24, v[27:28]
	s_add_u32 s24, s24, 8
	s_addc_u32 s25, s25, 0
	v_or_b32_e32 v18, v4, v18
	s_cmp_lg_u32 s28, s26
	v_or_b32_e32 v19, v5, v19
	s_cbranch_scc1 .LBB6_726
	s_branch .LBB6_729
.LBB6_727:                              ;   in Loop: Header=BB6_692 Depth=1
                                        ; implicit-def: $sgpr15
	s_branch .LBB6_730
.LBB6_728:                              ;   in Loop: Header=BB6_692 Depth=1
	v_mov_b32_e32 v18, 0
	v_mov_b32_e32 v19, 0
.LBB6_729:                              ;   in Loop: Header=BB6_692 Depth=1
	s_mov_b32 s15, 0
	s_cbranch_execnz .LBB6_731
.LBB6_730:                              ;   in Loop: Header=BB6_692 Depth=1
	global_load_dwordx2 v[18:19], v28, s[4:5]
	s_add_i32 s15, s28, -8
	s_add_u32 s4, s4, 8
	s_addc_u32 s5, s5, 0
.LBB6_731:                              ;   in Loop: Header=BB6_692 Depth=1
	s_cmp_gt_u32 s15, 7
	s_cbranch_scc1 .LBB6_735
; %bb.732:                              ;   in Loop: Header=BB6_692 Depth=1
	s_cmp_eq_u32 s15, 0
	s_cbranch_scc1 .LBB6_736
; %bb.733:                              ;   in Loop: Header=BB6_692 Depth=1
	v_mov_b32_e32 v20, 0
	s_mov_b64 s[24:25], 0
	v_mov_b32_e32 v21, 0
	s_mov_b64 s[26:27], 0
.LBB6_734:                              ;   Parent Loop BB6_692 Depth=1
                                        ; =>  This Inner Loop Header: Depth=2
	s_add_u32 s28, s4, s26
	s_addc_u32 s29, s5, s27
	global_load_ubyte v4, v28, s[28:29]
	s_add_u32 s26, s26, 1
	s_addc_u32 s27, s27, 0
	s_waitcnt vmcnt(0)
	v_and_b32_e32 v27, 0xffff, v4
	v_lshlrev_b64 v[4:5], s24, v[27:28]
	s_add_u32 s24, s24, 8
	s_addc_u32 s25, s25, 0
	v_or_b32_e32 v20, v4, v20
	s_cmp_lg_u32 s15, s26
	v_or_b32_e32 v21, v5, v21
	s_cbranch_scc1 .LBB6_734
	s_branch .LBB6_737
.LBB6_735:                              ;   in Loop: Header=BB6_692 Depth=1
                                        ; implicit-def: $vgpr20_vgpr21
                                        ; implicit-def: $sgpr28
	s_branch .LBB6_738
.LBB6_736:                              ;   in Loop: Header=BB6_692 Depth=1
	v_mov_b32_e32 v20, 0
	v_mov_b32_e32 v21, 0
.LBB6_737:                              ;   in Loop: Header=BB6_692 Depth=1
	s_mov_b32 s28, 0
	s_cbranch_execnz .LBB6_739
.LBB6_738:                              ;   in Loop: Header=BB6_692 Depth=1
	global_load_dwordx2 v[20:21], v28, s[4:5]
	s_add_i32 s28, s15, -8
	s_add_u32 s4, s4, 8
	s_addc_u32 s5, s5, 0
.LBB6_739:                              ;   in Loop: Header=BB6_692 Depth=1
	s_cmp_gt_u32 s28, 7
	s_cbranch_scc1 .LBB6_743
; %bb.740:                              ;   in Loop: Header=BB6_692 Depth=1
	s_cmp_eq_u32 s28, 0
	s_cbranch_scc1 .LBB6_744
; %bb.741:                              ;   in Loop: Header=BB6_692 Depth=1
	v_mov_b32_e32 v22, 0
	s_mov_b64 s[24:25], 0
	v_mov_b32_e32 v23, 0
	s_mov_b64 s[26:27], s[4:5]
.LBB6_742:                              ;   Parent Loop BB6_692 Depth=1
                                        ; =>  This Inner Loop Header: Depth=2
	global_load_ubyte v4, v28, s[26:27]
	s_add_i32 s28, s28, -1
	s_waitcnt vmcnt(0)
	v_and_b32_e32 v27, 0xffff, v4
	v_lshlrev_b64 v[4:5], s24, v[27:28]
	s_add_u32 s24, s24, 8
	s_addc_u32 s25, s25, 0
	s_add_u32 s26, s26, 1
	s_addc_u32 s27, s27, 0
	v_or_b32_e32 v22, v4, v22
	s_cmp_lg_u32 s28, 0
	v_or_b32_e32 v23, v5, v23
	s_cbranch_scc1 .LBB6_742
	s_branch .LBB6_745
.LBB6_743:                              ;   in Loop: Header=BB6_692 Depth=1
	s_branch .LBB6_746
.LBB6_744:                              ;   in Loop: Header=BB6_692 Depth=1
	v_mov_b32_e32 v22, 0
	v_mov_b32_e32 v23, 0
.LBB6_745:                              ;   in Loop: Header=BB6_692 Depth=1
	s_cbranch_execnz .LBB6_747
.LBB6_746:                              ;   in Loop: Header=BB6_692 Depth=1
	global_load_dwordx2 v[22:23], v28, s[4:5]
.LBB6_747:                              ;   in Loop: Header=BB6_692 Depth=1
	v_readfirstlane_b32 s4, v32
	s_waitcnt vmcnt(0)
	v_mov_b32_e32 v4, 0
	v_mov_b32_e32 v5, 0
	v_cmp_eq_u32_e64 s[4:5], s4, v32
	s_and_saveexec_b64 s[24:25], s[4:5]
	s_cbranch_execz .LBB6_753
; %bb.748:                              ;   in Loop: Header=BB6_692 Depth=1
	global_load_dwordx2 v[26:27], v28, s[6:7] offset:24 glc
	s_waitcnt vmcnt(0)
	buffer_wbinvl1_vol
	global_load_dwordx2 v[4:5], v28, s[6:7] offset:40
	global_load_dwordx2 v[8:9], v28, s[6:7]
	s_waitcnt vmcnt(1)
	v_and_b32_e32 v4, v4, v26
	v_and_b32_e32 v5, v5, v27
	v_mul_lo_u32 v5, v5, 24
	v_mul_hi_u32 v24, v4, 24
	v_mul_lo_u32 v4, v4, 24
	v_add_u32_e32 v5, v24, v5
	s_waitcnt vmcnt(0)
	v_add_co_u32_e32 v4, vcc, v8, v4
	v_addc_co_u32_e32 v5, vcc, v9, v5, vcc
	global_load_dwordx2 v[24:25], v[4:5], off glc
	s_waitcnt vmcnt(0)
	global_atomic_cmpswap_x2 v[4:5], v28, v[24:27], s[6:7] offset:24 glc
	s_waitcnt vmcnt(0)
	buffer_wbinvl1_vol
	v_cmp_ne_u64_e32 vcc, v[4:5], v[26:27]
	s_and_saveexec_b64 s[26:27], vcc
	s_cbranch_execz .LBB6_752
; %bb.749:                              ;   in Loop: Header=BB6_692 Depth=1
	s_mov_b64 s[28:29], 0
.LBB6_750:                              ;   Parent Loop BB6_692 Depth=1
                                        ; =>  This Inner Loop Header: Depth=2
	s_sleep 1
	global_load_dwordx2 v[8:9], v28, s[6:7] offset:40
	global_load_dwordx2 v[24:25], v28, s[6:7]
	v_mov_b32_e32 v27, v5
	v_mov_b32_e32 v26, v4
	s_waitcnt vmcnt(1)
	v_and_b32_e32 v4, v8, v26
	s_waitcnt vmcnt(0)
	v_mad_u64_u32 v[4:5], vcc, v4, 24, v[24:25]
	v_and_b32_e32 v8, v9, v27
	v_mad_u64_u32 v[8:9], vcc, v8, 24, v[5:6]
	v_mov_b32_e32 v5, v8
	global_load_dwordx2 v[24:25], v[4:5], off glc
	s_waitcnt vmcnt(0)
	global_atomic_cmpswap_x2 v[4:5], v28, v[24:27], s[6:7] offset:24 glc
	s_waitcnt vmcnt(0)
	buffer_wbinvl1_vol
	v_cmp_eq_u64_e32 vcc, v[4:5], v[26:27]
	s_or_b64 s[28:29], vcc, s[28:29]
	s_andn2_b64 exec, exec, s[28:29]
	s_cbranch_execnz .LBB6_750
; %bb.751:                              ;   in Loop: Header=BB6_692 Depth=1
	s_or_b64 exec, exec, s[28:29]
.LBB6_752:                              ;   in Loop: Header=BB6_692 Depth=1
	s_or_b64 exec, exec, s[26:27]
.LBB6_753:                              ;   in Loop: Header=BB6_692 Depth=1
	s_or_b64 exec, exec, s[24:25]
	global_load_dwordx2 v[8:9], v28, s[6:7] offset:40
	global_load_dwordx4 v[24:27], v28, s[6:7]
	v_readfirstlane_b32 s24, v4
	v_readfirstlane_b32 s25, v5
	s_mov_b64 s[26:27], exec
	s_waitcnt vmcnt(1)
	v_readfirstlane_b32 s28, v8
	v_readfirstlane_b32 s29, v9
	s_and_b64 s[28:29], s[24:25], s[28:29]
	s_mul_i32 s15, s29, 24
	s_mul_hi_u32 vcc_lo, s28, 24
	s_mul_i32 vcc_hi, s28, 24
	s_add_i32 s15, vcc_lo, s15
	v_mov_b32_e32 v4, s15
	s_waitcnt vmcnt(0)
	v_add_co_u32_e32 v29, vcc, vcc_hi, v24
	v_addc_co_u32_e32 v30, vcc, v25, v4, vcc
	s_and_saveexec_b64 vcc, s[4:5]
	s_cbranch_execz .LBB6_755
; %bb.754:                              ;   in Loop: Header=BB6_692 Depth=1
	v_mov_b32_e32 v4, s26
	v_mov_b32_e32 v5, s27
	global_store_dwordx4 v[29:30], v[4:7], off offset:8
.LBB6_755:                              ;   in Loop: Header=BB6_692 Depth=1
	s_or_b64 exec, exec, vcc
	s_lshl_b64 s[26:27], s[28:29], 12
	v_mov_b32_e32 v4, s27
	v_add_co_u32_e32 v26, vcc, s26, v26
	v_addc_co_u32_e32 v34, vcc, v27, v4, vcc
	v_cmp_gt_u64_e64 vcc, s[20:21], 56
	v_or_b32_e32 v5, v2, v33
	s_lshl_b32 s15, s22, 2
	v_cndmask_b32_e32 v2, v5, v2, vcc
	s_add_i32 s15, s15, 28
	v_or_b32_e32 v4, 0, v3
	s_and_b32 s15, s15, 0x1e0
	v_and_b32_e32 v2, 0xffffff1f, v2
	v_cndmask_b32_e32 v9, v4, v3, vcc
	v_or_b32_e32 v8, s15, v2
	v_readfirstlane_b32 s26, v26
	v_readfirstlane_b32 s27, v34
	s_nop 4
	global_store_dwordx4 v31, v[8:11], s[26:27]
	global_store_dwordx4 v31, v[12:15], s[26:27] offset:16
	global_store_dwordx4 v31, v[16:19], s[26:27] offset:32
	;; [unrolled: 1-line block ×3, first 2 shown]
	s_and_saveexec_b64 s[26:27], s[4:5]
	s_cbranch_execz .LBB6_763
; %bb.756:                              ;   in Loop: Header=BB6_692 Depth=1
	global_load_dwordx2 v[12:13], v28, s[6:7] offset:32 glc
	global_load_dwordx2 v[2:3], v28, s[6:7] offset:40
	v_mov_b32_e32 v10, s24
	v_mov_b32_e32 v11, s25
	s_waitcnt vmcnt(0)
	v_readfirstlane_b32 s28, v2
	v_readfirstlane_b32 s29, v3
	s_and_b64 s[28:29], s[28:29], s[24:25]
	s_mul_i32 s15, s29, 24
	s_mul_hi_u32 s29, s28, 24
	s_mul_i32 s28, s28, 24
	s_add_i32 s15, s29, s15
	v_mov_b32_e32 v2, s15
	v_add_co_u32_e32 v8, vcc, s28, v24
	v_addc_co_u32_e32 v9, vcc, v25, v2, vcc
	global_store_dwordx2 v[8:9], v[12:13], off
	s_waitcnt vmcnt(0)
	global_atomic_cmpswap_x2 v[4:5], v28, v[10:13], s[6:7] offset:32 glc
	s_waitcnt vmcnt(0)
	v_cmp_ne_u64_e32 vcc, v[4:5], v[12:13]
	s_and_saveexec_b64 s[28:29], vcc
	s_cbranch_execz .LBB6_759
; %bb.757:                              ;   in Loop: Header=BB6_692 Depth=1
	s_mov_b64 s[30:31], 0
.LBB6_758:                              ;   Parent Loop BB6_692 Depth=1
                                        ; =>  This Inner Loop Header: Depth=2
	s_sleep 1
	global_store_dwordx2 v[8:9], v[4:5], off
	v_mov_b32_e32 v2, s24
	v_mov_b32_e32 v3, s25
	s_waitcnt vmcnt(0)
	global_atomic_cmpswap_x2 v[2:3], v28, v[2:5], s[6:7] offset:32 glc
	s_waitcnt vmcnt(0)
	v_cmp_eq_u64_e32 vcc, v[2:3], v[4:5]
	v_mov_b32_e32 v5, v3
	s_or_b64 s[30:31], vcc, s[30:31]
	v_mov_b32_e32 v4, v2
	s_andn2_b64 exec, exec, s[30:31]
	s_cbranch_execnz .LBB6_758
.LBB6_759:                              ;   in Loop: Header=BB6_692 Depth=1
	s_or_b64 exec, exec, s[28:29]
	global_load_dwordx2 v[2:3], v28, s[6:7] offset:16
	s_mov_b64 s[30:31], exec
	v_mbcnt_lo_u32_b32 v4, s30, 0
	v_mbcnt_hi_u32_b32 v4, s31, v4
	v_cmp_eq_u32_e32 vcc, 0, v4
	s_and_saveexec_b64 s[28:29], vcc
	s_cbranch_execz .LBB6_761
; %bb.760:                              ;   in Loop: Header=BB6_692 Depth=1
	s_bcnt1_i32_b64 s15, s[30:31]
	v_mov_b32_e32 v27, s15
	s_waitcnt vmcnt(0)
	global_atomic_add_x2 v[2:3], v[27:28], off offset:8
.LBB6_761:                              ;   in Loop: Header=BB6_692 Depth=1
	s_or_b64 exec, exec, s[28:29]
	s_waitcnt vmcnt(0)
	global_load_dwordx2 v[4:5], v[2:3], off offset:16
	s_waitcnt vmcnt(0)
	v_cmp_eq_u64_e32 vcc, 0, v[4:5]
	s_cbranch_vccnz .LBB6_763
; %bb.762:                              ;   in Loop: Header=BB6_692 Depth=1
	global_load_dword v27, v[2:3], off offset:24
	s_waitcnt vmcnt(0)
	v_and_b32_e32 v2, 0xffffff, v27
	v_readfirstlane_b32 m0, v2
	global_store_dwordx2 v[4:5], v[27:28], off
	s_sendmsg sendmsg(MSG_INTERRUPT)
.LBB6_763:                              ;   in Loop: Header=BB6_692 Depth=1
	s_or_b64 exec, exec, s[26:27]
	v_add_co_u32_e32 v2, vcc, v26, v31
	v_addc_co_u32_e32 v3, vcc, 0, v34, vcc
	s_branch .LBB6_767
.LBB6_764:                              ;   in Loop: Header=BB6_767 Depth=2
	s_or_b64 exec, exec, s[26:27]
	v_readfirstlane_b32 s15, v4
	s_cmp_eq_u32 s15, 0
	s_cbranch_scc1 .LBB6_766
; %bb.765:                              ;   in Loop: Header=BB6_767 Depth=2
	s_sleep 1
	s_cbranch_execnz .LBB6_767
	s_branch .LBB6_769
.LBB6_766:                              ;   in Loop: Header=BB6_692 Depth=1
	s_branch .LBB6_769
.LBB6_767:                              ;   Parent Loop BB6_692 Depth=1
                                        ; =>  This Inner Loop Header: Depth=2
	v_mov_b32_e32 v4, 1
	s_and_saveexec_b64 s[26:27], s[4:5]
	s_cbranch_execz .LBB6_764
; %bb.768:                              ;   in Loop: Header=BB6_767 Depth=2
	global_load_dword v4, v[29:30], off offset:20 glc
	s_waitcnt vmcnt(0)
	buffer_wbinvl1_vol
	v_and_b32_e32 v4, 1, v4
	s_branch .LBB6_764
.LBB6_769:                              ;   in Loop: Header=BB6_692 Depth=1
	global_load_dwordx4 v[2:5], v[2:3], off
	s_and_saveexec_b64 s[26:27], s[4:5]
	s_cbranch_execz .LBB6_691
; %bb.770:                              ;   in Loop: Header=BB6_692 Depth=1
	global_load_dwordx2 v[4:5], v28, s[6:7] offset:40
	global_load_dwordx2 v[12:13], v28, s[6:7] offset:24 glc
	global_load_dwordx2 v[14:15], v28, s[6:7]
	v_mov_b32_e32 v9, s25
	s_waitcnt vmcnt(2)
	v_add_co_u32_e32 v10, vcc, 1, v4
	v_addc_co_u32_e32 v11, vcc, 0, v5, vcc
	v_add_co_u32_e32 v8, vcc, s24, v10
	v_addc_co_u32_e32 v9, vcc, v11, v9, vcc
	v_cmp_eq_u64_e32 vcc, 0, v[8:9]
	v_cndmask_b32_e32 v9, v9, v11, vcc
	v_cndmask_b32_e32 v8, v8, v10, vcc
	v_and_b32_e32 v5, v9, v5
	v_and_b32_e32 v4, v8, v4
	v_mul_lo_u32 v5, v5, 24
	v_mul_hi_u32 v11, v4, 24
	v_mul_lo_u32 v4, v4, 24
	s_waitcnt vmcnt(1)
	v_mov_b32_e32 v10, v12
	v_add_u32_e32 v5, v11, v5
	s_waitcnt vmcnt(0)
	v_add_co_u32_e32 v4, vcc, v14, v4
	v_addc_co_u32_e32 v5, vcc, v15, v5, vcc
	global_store_dwordx2 v[4:5], v[12:13], off
	v_mov_b32_e32 v11, v13
	s_waitcnt vmcnt(0)
	global_atomic_cmpswap_x2 v[10:11], v28, v[8:11], s[6:7] offset:24 glc
	s_waitcnt vmcnt(0)
	v_cmp_ne_u64_e32 vcc, v[10:11], v[12:13]
	s_and_b64 exec, exec, vcc
	s_cbranch_execz .LBB6_691
; %bb.771:                              ;   in Loop: Header=BB6_692 Depth=1
	s_mov_b64 s[4:5], 0
.LBB6_772:                              ;   Parent Loop BB6_692 Depth=1
                                        ; =>  This Inner Loop Header: Depth=2
	s_sleep 1
	global_store_dwordx2 v[4:5], v[10:11], off
	s_waitcnt vmcnt(0)
	global_atomic_cmpswap_x2 v[12:13], v28, v[8:11], s[6:7] offset:24 glc
	s_waitcnt vmcnt(0)
	v_cmp_eq_u64_e32 vcc, v[12:13], v[10:11]
	v_mov_b32_e32 v10, v12
	s_or_b64 s[4:5], vcc, s[4:5]
	v_mov_b32_e32 v11, v13
	s_andn2_b64 exec, exec, s[4:5]
	s_cbranch_execnz .LBB6_772
	s_branch .LBB6_691
.LBB6_773:
	s_branch .LBB6_801
.LBB6_774:
                                        ; implicit-def: $vgpr2_vgpr3
	s_cbranch_execz .LBB6_801
; %bb.775:
	v_readfirstlane_b32 s4, v32
	v_mov_b32_e32 v8, 0
	v_mov_b32_e32 v9, 0
	v_cmp_eq_u32_e64 s[4:5], s4, v32
	s_and_saveexec_b64 s[18:19], s[4:5]
	s_cbranch_execz .LBB6_781
; %bb.776:
	s_waitcnt vmcnt(0)
	v_mov_b32_e32 v2, 0
	global_load_dwordx2 v[5:6], v2, s[6:7] offset:24 glc
	s_waitcnt vmcnt(0)
	buffer_wbinvl1_vol
	global_load_dwordx2 v[3:4], v2, s[6:7] offset:40
	global_load_dwordx2 v[7:8], v2, s[6:7]
	s_waitcnt vmcnt(1)
	v_and_b32_e32 v3, v3, v5
	v_and_b32_e32 v4, v4, v6
	v_mul_lo_u32 v4, v4, 24
	v_mul_hi_u32 v9, v3, 24
	v_mul_lo_u32 v3, v3, 24
	v_add_u32_e32 v4, v9, v4
	s_waitcnt vmcnt(0)
	v_add_co_u32_e32 v3, vcc, v7, v3
	v_addc_co_u32_e32 v4, vcc, v8, v4, vcc
	global_load_dwordx2 v[3:4], v[3:4], off glc
	s_waitcnt vmcnt(0)
	global_atomic_cmpswap_x2 v[8:9], v2, v[3:6], s[6:7] offset:24 glc
	s_waitcnt vmcnt(0)
	buffer_wbinvl1_vol
	v_cmp_ne_u64_e32 vcc, v[8:9], v[5:6]
	s_and_saveexec_b64 s[20:21], vcc
	s_cbranch_execz .LBB6_780
; %bb.777:
	s_mov_b64 s[22:23], 0
.LBB6_778:                              ; =>This Inner Loop Header: Depth=1
	s_sleep 1
	global_load_dwordx2 v[3:4], v2, s[6:7] offset:40
	global_load_dwordx2 v[10:11], v2, s[6:7]
	v_mov_b32_e32 v5, v8
	v_mov_b32_e32 v6, v9
	s_waitcnt vmcnt(1)
	v_and_b32_e32 v3, v3, v5
	s_waitcnt vmcnt(0)
	v_mad_u64_u32 v[7:8], s[24:25], v3, 24, v[10:11]
	v_and_b32_e32 v4, v4, v6
	v_mov_b32_e32 v3, v8
	v_mad_u64_u32 v[3:4], s[24:25], v4, 24, v[3:4]
	v_mov_b32_e32 v8, v3
	global_load_dwordx2 v[3:4], v[7:8], off glc
	s_waitcnt vmcnt(0)
	global_atomic_cmpswap_x2 v[8:9], v2, v[3:6], s[6:7] offset:24 glc
	s_waitcnt vmcnt(0)
	buffer_wbinvl1_vol
	v_cmp_eq_u64_e32 vcc, v[8:9], v[5:6]
	s_or_b64 s[22:23], vcc, s[22:23]
	s_andn2_b64 exec, exec, s[22:23]
	s_cbranch_execnz .LBB6_778
; %bb.779:
	s_or_b64 exec, exec, s[22:23]
.LBB6_780:
	s_or_b64 exec, exec, s[20:21]
.LBB6_781:
	s_or_b64 exec, exec, s[18:19]
	s_waitcnt vmcnt(0)
	v_mov_b32_e32 v2, 0
	global_load_dwordx2 v[10:11], v2, s[6:7] offset:40
	global_load_dwordx4 v[4:7], v2, s[6:7]
	v_readfirstlane_b32 s18, v8
	v_readfirstlane_b32 s19, v9
	s_mov_b64 s[20:21], exec
	s_waitcnt vmcnt(1)
	v_readfirstlane_b32 s22, v10
	v_readfirstlane_b32 s23, v11
	s_and_b64 s[22:23], s[18:19], s[22:23]
	s_mul_i32 s15, s23, 24
	s_mul_hi_u32 s24, s22, 24
	s_mul_i32 s25, s22, 24
	s_add_i32 s15, s24, s15
	v_mov_b32_e32 v3, s15
	s_waitcnt vmcnt(0)
	v_add_co_u32_e32 v8, vcc, s25, v4
	v_addc_co_u32_e32 v9, vcc, v5, v3, vcc
	s_and_saveexec_b64 s[24:25], s[4:5]
	s_cbranch_execz .LBB6_783
; %bb.782:
	v_mov_b32_e32 v10, s20
	v_mov_b32_e32 v11, s21
	;; [unrolled: 1-line block ×4, first 2 shown]
	global_store_dwordx4 v[8:9], v[10:13], off offset:8
.LBB6_783:
	s_or_b64 exec, exec, s[24:25]
	s_lshl_b64 s[20:21], s[22:23], 12
	v_mov_b32_e32 v3, s21
	v_add_co_u32_e32 v10, vcc, s20, v6
	v_addc_co_u32_e32 v11, vcc, v7, v3, vcc
	s_movk_i32 s15, 0xff1f
	v_and_or_b32 v0, v0, s15, 32
	s_mov_b32 s20, 0
	v_mov_b32_e32 v3, v2
	v_readfirstlane_b32 s24, v10
	v_readfirstlane_b32 s25, v11
	v_add_co_u32_e32 v6, vcc, v10, v31
	s_mov_b32 s21, s20
	s_mov_b32 s22, s20
	;; [unrolled: 1-line block ×3, first 2 shown]
	s_nop 0
	global_store_dwordx4 v31, v[0:3], s[24:25]
	v_addc_co_u32_e32 v7, vcc, 0, v11, vcc
	v_mov_b32_e32 v0, s20
	v_mov_b32_e32 v1, s21
	;; [unrolled: 1-line block ×4, first 2 shown]
	global_store_dwordx4 v31, v[0:3], s[24:25] offset:16
	global_store_dwordx4 v31, v[0:3], s[24:25] offset:32
	;; [unrolled: 1-line block ×3, first 2 shown]
	s_and_saveexec_b64 s[20:21], s[4:5]
	s_cbranch_execz .LBB6_791
; %bb.784:
	v_mov_b32_e32 v10, 0
	global_load_dwordx2 v[13:14], v10, s[6:7] offset:32 glc
	global_load_dwordx2 v[0:1], v10, s[6:7] offset:40
	v_mov_b32_e32 v11, s18
	v_mov_b32_e32 v12, s19
	s_waitcnt vmcnt(0)
	v_readfirstlane_b32 s22, v0
	v_readfirstlane_b32 s23, v1
	s_and_b64 s[22:23], s[22:23], s[18:19]
	s_mul_i32 s15, s23, 24
	s_mul_hi_u32 s23, s22, 24
	s_mul_i32 s22, s22, 24
	s_add_i32 s15, s23, s15
	v_mov_b32_e32 v0, s15
	v_add_co_u32_e32 v4, vcc, s22, v4
	v_addc_co_u32_e32 v5, vcc, v5, v0, vcc
	global_store_dwordx2 v[4:5], v[13:14], off
	s_waitcnt vmcnt(0)
	global_atomic_cmpswap_x2 v[2:3], v10, v[11:14], s[6:7] offset:32 glc
	s_waitcnt vmcnt(0)
	v_cmp_ne_u64_e32 vcc, v[2:3], v[13:14]
	s_and_saveexec_b64 s[22:23], vcc
	s_cbranch_execz .LBB6_787
; %bb.785:
	s_mov_b64 s[24:25], 0
.LBB6_786:                              ; =>This Inner Loop Header: Depth=1
	s_sleep 1
	global_store_dwordx2 v[4:5], v[2:3], off
	v_mov_b32_e32 v0, s18
	v_mov_b32_e32 v1, s19
	s_waitcnt vmcnt(0)
	global_atomic_cmpswap_x2 v[0:1], v10, v[0:3], s[6:7] offset:32 glc
	s_waitcnt vmcnt(0)
	v_cmp_eq_u64_e32 vcc, v[0:1], v[2:3]
	v_mov_b32_e32 v3, v1
	s_or_b64 s[24:25], vcc, s[24:25]
	v_mov_b32_e32 v2, v0
	s_andn2_b64 exec, exec, s[24:25]
	s_cbranch_execnz .LBB6_786
.LBB6_787:
	s_or_b64 exec, exec, s[22:23]
	v_mov_b32_e32 v3, 0
	global_load_dwordx2 v[0:1], v3, s[6:7] offset:16
	s_mov_b64 s[22:23], exec
	v_mbcnt_lo_u32_b32 v2, s22, 0
	v_mbcnt_hi_u32_b32 v2, s23, v2
	v_cmp_eq_u32_e32 vcc, 0, v2
	s_and_saveexec_b64 s[24:25], vcc
	s_cbranch_execz .LBB6_789
; %bb.788:
	s_bcnt1_i32_b64 s15, s[22:23]
	v_mov_b32_e32 v2, s15
	s_waitcnt vmcnt(0)
	global_atomic_add_x2 v[0:1], v[2:3], off offset:8
.LBB6_789:
	s_or_b64 exec, exec, s[24:25]
	s_waitcnt vmcnt(0)
	global_load_dwordx2 v[2:3], v[0:1], off offset:16
	s_waitcnt vmcnt(0)
	v_cmp_eq_u64_e32 vcc, 0, v[2:3]
	s_cbranch_vccnz .LBB6_791
; %bb.790:
	global_load_dword v0, v[0:1], off offset:24
	v_mov_b32_e32 v1, 0
	s_waitcnt vmcnt(0)
	global_store_dwordx2 v[2:3], v[0:1], off
	v_and_b32_e32 v0, 0xffffff, v0
	v_readfirstlane_b32 m0, v0
	s_sendmsg sendmsg(MSG_INTERRUPT)
.LBB6_791:
	s_or_b64 exec, exec, s[20:21]
	s_branch .LBB6_795
.LBB6_792:                              ;   in Loop: Header=BB6_795 Depth=1
	s_or_b64 exec, exec, s[20:21]
	v_readfirstlane_b32 s15, v0
	s_cmp_eq_u32 s15, 0
	s_cbranch_scc1 .LBB6_794
; %bb.793:                              ;   in Loop: Header=BB6_795 Depth=1
	s_sleep 1
	s_cbranch_execnz .LBB6_795
	s_branch .LBB6_797
.LBB6_794:
	s_branch .LBB6_797
.LBB6_795:                              ; =>This Inner Loop Header: Depth=1
	v_mov_b32_e32 v0, 1
	s_and_saveexec_b64 s[20:21], s[4:5]
	s_cbranch_execz .LBB6_792
; %bb.796:                              ;   in Loop: Header=BB6_795 Depth=1
	global_load_dword v0, v[8:9], off offset:20 glc
	s_waitcnt vmcnt(0)
	buffer_wbinvl1_vol
	v_and_b32_e32 v0, 1, v0
	s_branch .LBB6_792
.LBB6_797:
	global_load_dwordx2 v[2:3], v[6:7], off
	s_and_saveexec_b64 s[20:21], s[4:5]
	s_cbranch_execz .LBB6_800
; %bb.798:
	v_mov_b32_e32 v8, 0
	global_load_dwordx2 v[0:1], v8, s[6:7] offset:40
	global_load_dwordx2 v[9:10], v8, s[6:7] offset:24 glc
	global_load_dwordx2 v[11:12], v8, s[6:7]
	v_mov_b32_e32 v5, s19
	s_mov_b64 s[4:5], 0
	s_waitcnt vmcnt(2)
	v_add_co_u32_e32 v6, vcc, 1, v0
	v_addc_co_u32_e32 v7, vcc, 0, v1, vcc
	v_add_co_u32_e32 v4, vcc, s18, v6
	v_addc_co_u32_e32 v5, vcc, v7, v5, vcc
	v_cmp_eq_u64_e32 vcc, 0, v[4:5]
	v_cndmask_b32_e32 v5, v5, v7, vcc
	v_cndmask_b32_e32 v4, v4, v6, vcc
	v_and_b32_e32 v1, v5, v1
	v_and_b32_e32 v0, v4, v0
	v_mul_lo_u32 v1, v1, 24
	v_mul_hi_u32 v7, v0, 24
	v_mul_lo_u32 v0, v0, 24
	s_waitcnt vmcnt(1)
	v_mov_b32_e32 v6, v9
	v_add_u32_e32 v1, v7, v1
	s_waitcnt vmcnt(0)
	v_add_co_u32_e32 v0, vcc, v11, v0
	v_addc_co_u32_e32 v1, vcc, v12, v1, vcc
	global_store_dwordx2 v[0:1], v[9:10], off
	v_mov_b32_e32 v7, v10
	s_waitcnt vmcnt(0)
	global_atomic_cmpswap_x2 v[6:7], v8, v[4:7], s[6:7] offset:24 glc
	s_waitcnt vmcnt(0)
	v_cmp_ne_u64_e32 vcc, v[6:7], v[9:10]
	s_and_b64 exec, exec, vcc
	s_cbranch_execz .LBB6_800
.LBB6_799:                              ; =>This Inner Loop Header: Depth=1
	s_sleep 1
	global_store_dwordx2 v[0:1], v[6:7], off
	s_waitcnt vmcnt(0)
	global_atomic_cmpswap_x2 v[9:10], v8, v[4:7], s[6:7] offset:24 glc
	s_waitcnt vmcnt(0)
	v_cmp_eq_u64_e32 vcc, v[9:10], v[6:7]
	v_mov_b32_e32 v6, v9
	s_or_b64 s[4:5], vcc, s[4:5]
	v_mov_b32_e32 v7, v10
	s_andn2_b64 exec, exec, s[4:5]
	s_cbranch_execnz .LBB6_799
.LBB6_800:
	s_or_b64 exec, exec, s[20:21]
.LBB6_801:
	v_readfirstlane_b32 s4, v32
	s_waitcnt vmcnt(0)
	v_mov_b32_e32 v0, 0
	v_mov_b32_e32 v1, 0
	v_cmp_eq_u32_e64 s[4:5], s4, v32
	s_and_saveexec_b64 s[18:19], s[4:5]
	s_cbranch_execz .LBB6_807
; %bb.802:
	v_mov_b32_e32 v4, 0
	global_load_dwordx2 v[7:8], v4, s[6:7] offset:24 glc
	s_waitcnt vmcnt(0)
	buffer_wbinvl1_vol
	global_load_dwordx2 v[0:1], v4, s[6:7] offset:40
	global_load_dwordx2 v[5:6], v4, s[6:7]
	s_waitcnt vmcnt(1)
	v_and_b32_e32 v0, v0, v7
	v_and_b32_e32 v1, v1, v8
	v_mul_lo_u32 v1, v1, 24
	v_mul_hi_u32 v9, v0, 24
	v_mul_lo_u32 v0, v0, 24
	v_add_u32_e32 v1, v9, v1
	s_waitcnt vmcnt(0)
	v_add_co_u32_e32 v0, vcc, v5, v0
	v_addc_co_u32_e32 v1, vcc, v6, v1, vcc
	global_load_dwordx2 v[5:6], v[0:1], off glc
	s_waitcnt vmcnt(0)
	global_atomic_cmpswap_x2 v[0:1], v4, v[5:8], s[6:7] offset:24 glc
	s_waitcnt vmcnt(0)
	buffer_wbinvl1_vol
	v_cmp_ne_u64_e32 vcc, v[0:1], v[7:8]
	s_and_saveexec_b64 s[20:21], vcc
	s_cbranch_execz .LBB6_806
; %bb.803:
	s_mov_b64 s[22:23], 0
.LBB6_804:                              ; =>This Inner Loop Header: Depth=1
	s_sleep 1
	global_load_dwordx2 v[5:6], v4, s[6:7] offset:40
	global_load_dwordx2 v[9:10], v4, s[6:7]
	v_mov_b32_e32 v8, v1
	v_mov_b32_e32 v7, v0
	s_waitcnt vmcnt(1)
	v_and_b32_e32 v0, v5, v7
	s_waitcnt vmcnt(0)
	v_mad_u64_u32 v[0:1], s[24:25], v0, 24, v[9:10]
	v_and_b32_e32 v5, v6, v8
	v_mad_u64_u32 v[5:6], s[24:25], v5, 24, v[1:2]
	v_mov_b32_e32 v1, v5
	global_load_dwordx2 v[5:6], v[0:1], off glc
	s_waitcnt vmcnt(0)
	global_atomic_cmpswap_x2 v[0:1], v4, v[5:8], s[6:7] offset:24 glc
	s_waitcnt vmcnt(0)
	buffer_wbinvl1_vol
	v_cmp_eq_u64_e32 vcc, v[0:1], v[7:8]
	s_or_b64 s[22:23], vcc, s[22:23]
	s_andn2_b64 exec, exec, s[22:23]
	s_cbranch_execnz .LBB6_804
; %bb.805:
	s_or_b64 exec, exec, s[22:23]
.LBB6_806:
	s_or_b64 exec, exec, s[20:21]
.LBB6_807:
	s_or_b64 exec, exec, s[18:19]
	v_mov_b32_e32 v5, 0
	global_load_dwordx2 v[10:11], v5, s[6:7] offset:40
	global_load_dwordx4 v[6:9], v5, s[6:7]
	v_readfirstlane_b32 s18, v0
	v_readfirstlane_b32 s19, v1
	s_mov_b64 s[20:21], exec
	s_waitcnt vmcnt(1)
	v_readfirstlane_b32 s22, v10
	v_readfirstlane_b32 s23, v11
	s_and_b64 s[22:23], s[18:19], s[22:23]
	s_mul_i32 s15, s23, 24
	s_mul_hi_u32 s24, s22, 24
	s_mul_i32 s25, s22, 24
	s_add_i32 s15, s24, s15
	v_mov_b32_e32 v0, s15
	s_waitcnt vmcnt(0)
	v_add_co_u32_e32 v10, vcc, s25, v6
	v_addc_co_u32_e32 v11, vcc, v7, v0, vcc
	s_and_saveexec_b64 s[24:25], s[4:5]
	s_cbranch_execz .LBB6_809
; %bb.808:
	v_mov_b32_e32 v12, s20
	v_mov_b32_e32 v13, s21
	;; [unrolled: 1-line block ×4, first 2 shown]
	global_store_dwordx4 v[10:11], v[12:15], off offset:8
.LBB6_809:
	s_or_b64 exec, exec, s[24:25]
	s_lshl_b64 s[20:21], s[22:23], 12
	v_mov_b32_e32 v0, s21
	v_add_co_u32_e32 v1, vcc, s20, v8
	v_addc_co_u32_e32 v0, vcc, v9, v0, vcc
	s_movk_i32 s15, 0xff1d
	v_and_or_b32 v2, v2, s15, 34
	s_mov_b32 s20, 0
	v_mov_b32_e32 v4, 58
	v_readfirstlane_b32 s24, v1
	v_readfirstlane_b32 s25, v0
	s_mov_b32 s21, s20
	s_mov_b32 s22, s20
	;; [unrolled: 1-line block ×3, first 2 shown]
	s_nop 1
	global_store_dwordx4 v31, v[2:5], s[24:25]
	v_mov_b32_e32 v0, s20
	v_mov_b32_e32 v1, s21
	;; [unrolled: 1-line block ×4, first 2 shown]
	global_store_dwordx4 v31, v[0:3], s[24:25] offset:16
	global_store_dwordx4 v31, v[0:3], s[24:25] offset:32
	;; [unrolled: 1-line block ×3, first 2 shown]
	s_and_saveexec_b64 s[20:21], s[4:5]
	s_cbranch_execz .LBB6_817
; %bb.810:
	v_mov_b32_e32 v8, 0
	global_load_dwordx2 v[14:15], v8, s[6:7] offset:32 glc
	global_load_dwordx2 v[0:1], v8, s[6:7] offset:40
	v_mov_b32_e32 v12, s18
	v_mov_b32_e32 v13, s19
	s_waitcnt vmcnt(0)
	v_readfirstlane_b32 s22, v0
	v_readfirstlane_b32 s23, v1
	s_and_b64 s[22:23], s[22:23], s[18:19]
	s_mul_i32 s15, s23, 24
	s_mul_hi_u32 s23, s22, 24
	s_mul_i32 s22, s22, 24
	s_add_i32 s15, s23, s15
	v_mov_b32_e32 v0, s15
	v_add_co_u32_e32 v4, vcc, s22, v6
	v_addc_co_u32_e32 v5, vcc, v7, v0, vcc
	global_store_dwordx2 v[4:5], v[14:15], off
	s_waitcnt vmcnt(0)
	global_atomic_cmpswap_x2 v[2:3], v8, v[12:15], s[6:7] offset:32 glc
	s_waitcnt vmcnt(0)
	v_cmp_ne_u64_e32 vcc, v[2:3], v[14:15]
	s_and_saveexec_b64 s[22:23], vcc
	s_cbranch_execz .LBB6_813
; %bb.811:
	s_mov_b64 s[24:25], 0
.LBB6_812:                              ; =>This Inner Loop Header: Depth=1
	s_sleep 1
	global_store_dwordx2 v[4:5], v[2:3], off
	v_mov_b32_e32 v0, s18
	v_mov_b32_e32 v1, s19
	s_waitcnt vmcnt(0)
	global_atomic_cmpswap_x2 v[0:1], v8, v[0:3], s[6:7] offset:32 glc
	s_waitcnt vmcnt(0)
	v_cmp_eq_u64_e32 vcc, v[0:1], v[2:3]
	v_mov_b32_e32 v3, v1
	s_or_b64 s[24:25], vcc, s[24:25]
	v_mov_b32_e32 v2, v0
	s_andn2_b64 exec, exec, s[24:25]
	s_cbranch_execnz .LBB6_812
.LBB6_813:
	s_or_b64 exec, exec, s[22:23]
	v_mov_b32_e32 v3, 0
	global_load_dwordx2 v[0:1], v3, s[6:7] offset:16
	s_mov_b64 s[22:23], exec
	v_mbcnt_lo_u32_b32 v2, s22, 0
	v_mbcnt_hi_u32_b32 v2, s23, v2
	v_cmp_eq_u32_e32 vcc, 0, v2
	s_and_saveexec_b64 s[24:25], vcc
	s_cbranch_execz .LBB6_815
; %bb.814:
	s_bcnt1_i32_b64 s15, s[22:23]
	v_mov_b32_e32 v2, s15
	s_waitcnt vmcnt(0)
	global_atomic_add_x2 v[0:1], v[2:3], off offset:8
.LBB6_815:
	s_or_b64 exec, exec, s[24:25]
	s_waitcnt vmcnt(0)
	global_load_dwordx2 v[2:3], v[0:1], off offset:16
	s_waitcnt vmcnt(0)
	v_cmp_eq_u64_e32 vcc, 0, v[2:3]
	s_cbranch_vccnz .LBB6_817
; %bb.816:
	global_load_dword v0, v[0:1], off offset:24
	v_mov_b32_e32 v1, 0
	s_waitcnt vmcnt(0)
	global_store_dwordx2 v[2:3], v[0:1], off
	v_and_b32_e32 v0, 0xffffff, v0
	v_readfirstlane_b32 m0, v0
	s_sendmsg sendmsg(MSG_INTERRUPT)
.LBB6_817:
	s_or_b64 exec, exec, s[20:21]
	s_branch .LBB6_821
.LBB6_818:                              ;   in Loop: Header=BB6_821 Depth=1
	s_or_b64 exec, exec, s[20:21]
	v_readfirstlane_b32 s15, v0
	s_cmp_eq_u32 s15, 0
	s_cbranch_scc1 .LBB6_820
; %bb.819:                              ;   in Loop: Header=BB6_821 Depth=1
	s_sleep 1
	s_cbranch_execnz .LBB6_821
	s_branch .LBB6_823
.LBB6_820:
	s_branch .LBB6_823
.LBB6_821:                              ; =>This Inner Loop Header: Depth=1
	v_mov_b32_e32 v0, 1
	s_and_saveexec_b64 s[20:21], s[4:5]
	s_cbranch_execz .LBB6_818
; %bb.822:                              ;   in Loop: Header=BB6_821 Depth=1
	global_load_dword v0, v[10:11], off offset:20 glc
	s_waitcnt vmcnt(0)
	buffer_wbinvl1_vol
	v_and_b32_e32 v0, 1, v0
	s_branch .LBB6_818
.LBB6_823:
	s_and_saveexec_b64 s[20:21], s[4:5]
	s_cbranch_execz .LBB6_826
; %bb.824:
	v_mov_b32_e32 v6, 0
	global_load_dwordx2 v[2:3], v6, s[6:7] offset:40
	global_load_dwordx2 v[7:8], v6, s[6:7] offset:24 glc
	global_load_dwordx2 v[4:5], v6, s[6:7]
	v_mov_b32_e32 v1, s19
	s_mov_b64 s[4:5], 0
	s_waitcnt vmcnt(2)
	v_add_co_u32_e32 v9, vcc, 1, v2
	v_addc_co_u32_e32 v10, vcc, 0, v3, vcc
	v_add_co_u32_e32 v0, vcc, s18, v9
	v_addc_co_u32_e32 v1, vcc, v10, v1, vcc
	v_cmp_eq_u64_e32 vcc, 0, v[0:1]
	v_cndmask_b32_e32 v1, v1, v10, vcc
	v_cndmask_b32_e32 v0, v0, v9, vcc
	v_and_b32_e32 v3, v1, v3
	v_and_b32_e32 v2, v0, v2
	v_mul_lo_u32 v3, v3, 24
	v_mul_hi_u32 v9, v2, 24
	v_mul_lo_u32 v10, v2, 24
	s_waitcnt vmcnt(1)
	v_mov_b32_e32 v2, v7
	v_add_u32_e32 v3, v9, v3
	s_waitcnt vmcnt(0)
	v_add_co_u32_e32 v4, vcc, v4, v10
	v_addc_co_u32_e32 v5, vcc, v5, v3, vcc
	global_store_dwordx2 v[4:5], v[7:8], off
	v_mov_b32_e32 v3, v8
	s_waitcnt vmcnt(0)
	global_atomic_cmpswap_x2 v[2:3], v6, v[0:3], s[6:7] offset:24 glc
	s_waitcnt vmcnt(0)
	v_cmp_ne_u64_e32 vcc, v[2:3], v[7:8]
	s_and_b64 exec, exec, vcc
	s_cbranch_execz .LBB6_826
.LBB6_825:                              ; =>This Inner Loop Header: Depth=1
	s_sleep 1
	global_store_dwordx2 v[4:5], v[2:3], off
	s_waitcnt vmcnt(0)
	global_atomic_cmpswap_x2 v[7:8], v6, v[0:3], s[6:7] offset:24 glc
	s_waitcnt vmcnt(0)
	v_cmp_eq_u64_e32 vcc, v[7:8], v[2:3]
	v_mov_b32_e32 v2, v7
	s_or_b64 s[4:5], vcc, s[4:5]
	v_mov_b32_e32 v3, v8
	s_andn2_b64 exec, exec, s[4:5]
	s_cbranch_execnz .LBB6_825
.LBB6_826:
	s_or_b64 exec, exec, s[20:21]
	v_readfirstlane_b32 s4, v32
	v_mov_b32_e32 v5, 0
	v_mov_b32_e32 v6, 0
	v_cmp_eq_u32_e64 s[4:5], s4, v32
	s_and_saveexec_b64 s[18:19], s[4:5]
	s_cbranch_execz .LBB6_832
; %bb.827:
	v_mov_b32_e32 v0, 0
	global_load_dwordx2 v[3:4], v0, s[6:7] offset:24 glc
	s_waitcnt vmcnt(0)
	buffer_wbinvl1_vol
	global_load_dwordx2 v[1:2], v0, s[6:7] offset:40
	global_load_dwordx2 v[5:6], v0, s[6:7]
	s_waitcnt vmcnt(1)
	v_and_b32_e32 v1, v1, v3
	v_and_b32_e32 v2, v2, v4
	v_mul_lo_u32 v2, v2, 24
	v_mul_hi_u32 v7, v1, 24
	v_mul_lo_u32 v1, v1, 24
	v_add_u32_e32 v2, v7, v2
	s_waitcnt vmcnt(0)
	v_add_co_u32_e32 v1, vcc, v5, v1
	v_addc_co_u32_e32 v2, vcc, v6, v2, vcc
	global_load_dwordx2 v[1:2], v[1:2], off glc
	s_waitcnt vmcnt(0)
	global_atomic_cmpswap_x2 v[5:6], v0, v[1:4], s[6:7] offset:24 glc
	s_waitcnt vmcnt(0)
	buffer_wbinvl1_vol
	v_cmp_ne_u64_e32 vcc, v[5:6], v[3:4]
	s_and_saveexec_b64 s[20:21], vcc
	s_cbranch_execz .LBB6_831
; %bb.828:
	s_mov_b64 s[22:23], 0
.LBB6_829:                              ; =>This Inner Loop Header: Depth=1
	s_sleep 1
	global_load_dwordx2 v[1:2], v0, s[6:7] offset:40
	global_load_dwordx2 v[7:8], v0, s[6:7]
	v_mov_b32_e32 v3, v5
	v_mov_b32_e32 v4, v6
	s_waitcnt vmcnt(1)
	v_and_b32_e32 v1, v1, v3
	s_waitcnt vmcnt(0)
	v_mad_u64_u32 v[5:6], s[24:25], v1, 24, v[7:8]
	v_and_b32_e32 v2, v2, v4
	v_mov_b32_e32 v1, v6
	v_mad_u64_u32 v[1:2], s[24:25], v2, 24, v[1:2]
	v_mov_b32_e32 v6, v1
	global_load_dwordx2 v[1:2], v[5:6], off glc
	s_waitcnt vmcnt(0)
	global_atomic_cmpswap_x2 v[5:6], v0, v[1:4], s[6:7] offset:24 glc
	s_waitcnt vmcnt(0)
	buffer_wbinvl1_vol
	v_cmp_eq_u64_e32 vcc, v[5:6], v[3:4]
	s_or_b64 s[22:23], vcc, s[22:23]
	s_andn2_b64 exec, exec, s[22:23]
	s_cbranch_execnz .LBB6_829
; %bb.830:
	s_or_b64 exec, exec, s[22:23]
.LBB6_831:
	s_or_b64 exec, exec, s[20:21]
.LBB6_832:
	s_or_b64 exec, exec, s[18:19]
	v_mov_b32_e32 v4, 0
	global_load_dwordx2 v[7:8], v4, s[6:7] offset:40
	global_load_dwordx4 v[0:3], v4, s[6:7]
	v_readfirstlane_b32 s18, v5
	v_readfirstlane_b32 s19, v6
	s_mov_b64 s[20:21], exec
	s_waitcnt vmcnt(1)
	v_readfirstlane_b32 s22, v7
	v_readfirstlane_b32 s23, v8
	s_and_b64 s[22:23], s[18:19], s[22:23]
	s_mul_i32 s15, s23, 24
	s_mul_hi_u32 s24, s22, 24
	s_mul_i32 s25, s22, 24
	s_add_i32 s15, s24, s15
	v_mov_b32_e32 v5, s15
	s_waitcnt vmcnt(0)
	v_add_co_u32_e32 v7, vcc, s25, v0
	v_addc_co_u32_e32 v8, vcc, v1, v5, vcc
	s_and_saveexec_b64 s[24:25], s[4:5]
	s_cbranch_execz .LBB6_834
; %bb.833:
	v_mov_b32_e32 v9, s20
	v_mov_b32_e32 v10, s21
	;; [unrolled: 1-line block ×4, first 2 shown]
	global_store_dwordx4 v[7:8], v[9:12], off offset:8
.LBB6_834:
	s_or_b64 exec, exec, s[24:25]
	s_lshl_b64 s[20:21], s[22:23], 12
	v_mov_b32_e32 v5, s21
	v_add_co_u32_e32 v2, vcc, s20, v2
	v_addc_co_u32_e32 v11, vcc, v3, v5, vcc
	s_mov_b32 s20, 0
	v_mov_b32_e32 v3, 33
	v_mov_b32_e32 v5, v4
	;; [unrolled: 1-line block ×3, first 2 shown]
	v_readfirstlane_b32 s24, v2
	v_readfirstlane_b32 s25, v11
	v_add_co_u32_e32 v9, vcc, v2, v31
	s_mov_b32 s21, s20
	s_mov_b32 s22, s20
	;; [unrolled: 1-line block ×3, first 2 shown]
	s_nop 0
	global_store_dwordx4 v31, v[3:6], s[24:25]
	v_mov_b32_e32 v2, s20
	v_addc_co_u32_e32 v10, vcc, 0, v11, vcc
	v_mov_b32_e32 v3, s21
	v_mov_b32_e32 v4, s22
	;; [unrolled: 1-line block ×3, first 2 shown]
	global_store_dwordx4 v31, v[2:5], s[24:25] offset:16
	global_store_dwordx4 v31, v[2:5], s[24:25] offset:32
	;; [unrolled: 1-line block ×3, first 2 shown]
	s_and_saveexec_b64 s[20:21], s[4:5]
	s_cbranch_execz .LBB6_842
; %bb.835:
	v_mov_b32_e32 v6, 0
	global_load_dwordx2 v[13:14], v6, s[6:7] offset:32 glc
	global_load_dwordx2 v[2:3], v6, s[6:7] offset:40
	v_mov_b32_e32 v11, s18
	v_mov_b32_e32 v12, s19
	s_waitcnt vmcnt(0)
	v_readfirstlane_b32 s22, v2
	v_readfirstlane_b32 s23, v3
	s_and_b64 s[22:23], s[22:23], s[18:19]
	s_mul_i32 s15, s23, 24
	s_mul_hi_u32 s23, s22, 24
	s_mul_i32 s22, s22, 24
	s_add_i32 s15, s23, s15
	v_mov_b32_e32 v2, s15
	v_add_co_u32_e32 v4, vcc, s22, v0
	v_addc_co_u32_e32 v5, vcc, v1, v2, vcc
	global_store_dwordx2 v[4:5], v[13:14], off
	s_waitcnt vmcnt(0)
	global_atomic_cmpswap_x2 v[2:3], v6, v[11:14], s[6:7] offset:32 glc
	s_waitcnt vmcnt(0)
	v_cmp_ne_u64_e32 vcc, v[2:3], v[13:14]
	s_and_saveexec_b64 s[22:23], vcc
	s_cbranch_execz .LBB6_838
; %bb.836:
	s_mov_b64 s[24:25], 0
.LBB6_837:                              ; =>This Inner Loop Header: Depth=1
	s_sleep 1
	global_store_dwordx2 v[4:5], v[2:3], off
	v_mov_b32_e32 v0, s18
	v_mov_b32_e32 v1, s19
	s_waitcnt vmcnt(0)
	global_atomic_cmpswap_x2 v[0:1], v6, v[0:3], s[6:7] offset:32 glc
	s_waitcnt vmcnt(0)
	v_cmp_eq_u64_e32 vcc, v[0:1], v[2:3]
	v_mov_b32_e32 v3, v1
	s_or_b64 s[24:25], vcc, s[24:25]
	v_mov_b32_e32 v2, v0
	s_andn2_b64 exec, exec, s[24:25]
	s_cbranch_execnz .LBB6_837
.LBB6_838:
	s_or_b64 exec, exec, s[22:23]
	v_mov_b32_e32 v3, 0
	global_load_dwordx2 v[0:1], v3, s[6:7] offset:16
	s_mov_b64 s[22:23], exec
	v_mbcnt_lo_u32_b32 v2, s22, 0
	v_mbcnt_hi_u32_b32 v2, s23, v2
	v_cmp_eq_u32_e32 vcc, 0, v2
	s_and_saveexec_b64 s[24:25], vcc
	s_cbranch_execz .LBB6_840
; %bb.839:
	s_bcnt1_i32_b64 s15, s[22:23]
	v_mov_b32_e32 v2, s15
	s_waitcnt vmcnt(0)
	global_atomic_add_x2 v[0:1], v[2:3], off offset:8
.LBB6_840:
	s_or_b64 exec, exec, s[24:25]
	s_waitcnt vmcnt(0)
	global_load_dwordx2 v[2:3], v[0:1], off offset:16
	s_waitcnt vmcnt(0)
	v_cmp_eq_u64_e32 vcc, 0, v[2:3]
	s_cbranch_vccnz .LBB6_842
; %bb.841:
	global_load_dword v0, v[0:1], off offset:24
	v_mov_b32_e32 v1, 0
	s_waitcnt vmcnt(0)
	global_store_dwordx2 v[2:3], v[0:1], off
	v_and_b32_e32 v0, 0xffffff, v0
	v_readfirstlane_b32 m0, v0
	s_sendmsg sendmsg(MSG_INTERRUPT)
.LBB6_842:
	s_or_b64 exec, exec, s[20:21]
	s_branch .LBB6_846
.LBB6_843:                              ;   in Loop: Header=BB6_846 Depth=1
	s_or_b64 exec, exec, s[20:21]
	v_readfirstlane_b32 s15, v0
	s_cmp_eq_u32 s15, 0
	s_cbranch_scc1 .LBB6_845
; %bb.844:                              ;   in Loop: Header=BB6_846 Depth=1
	s_sleep 1
	s_cbranch_execnz .LBB6_846
	s_branch .LBB6_848
.LBB6_845:
	s_branch .LBB6_848
.LBB6_846:                              ; =>This Inner Loop Header: Depth=1
	v_mov_b32_e32 v0, 1
	s_and_saveexec_b64 s[20:21], s[4:5]
	s_cbranch_execz .LBB6_843
; %bb.847:                              ;   in Loop: Header=BB6_846 Depth=1
	global_load_dword v0, v[7:8], off offset:20 glc
	s_waitcnt vmcnt(0)
	buffer_wbinvl1_vol
	v_and_b32_e32 v0, 1, v0
	s_branch .LBB6_843
.LBB6_848:
	global_load_dwordx2 v[0:1], v[9:10], off
	s_and_saveexec_b64 s[20:21], s[4:5]
	s_cbranch_execz .LBB6_851
; %bb.849:
	v_mov_b32_e32 v8, 0
	global_load_dwordx2 v[4:5], v8, s[6:7] offset:40
	global_load_dwordx2 v[9:10], v8, s[6:7] offset:24 glc
	global_load_dwordx2 v[6:7], v8, s[6:7]
	v_mov_b32_e32 v3, s19
	s_mov_b64 s[4:5], 0
	s_waitcnt vmcnt(2)
	v_add_co_u32_e32 v11, vcc, 1, v4
	v_addc_co_u32_e32 v12, vcc, 0, v5, vcc
	v_add_co_u32_e32 v2, vcc, s18, v11
	v_addc_co_u32_e32 v3, vcc, v12, v3, vcc
	v_cmp_eq_u64_e32 vcc, 0, v[2:3]
	v_cndmask_b32_e32 v3, v3, v12, vcc
	v_cndmask_b32_e32 v2, v2, v11, vcc
	v_and_b32_e32 v5, v3, v5
	v_and_b32_e32 v4, v2, v4
	v_mul_lo_u32 v5, v5, 24
	v_mul_hi_u32 v11, v4, 24
	v_mul_lo_u32 v12, v4, 24
	s_waitcnt vmcnt(1)
	v_mov_b32_e32 v4, v9
	v_add_u32_e32 v5, v11, v5
	s_waitcnt vmcnt(0)
	v_add_co_u32_e32 v6, vcc, v6, v12
	v_addc_co_u32_e32 v7, vcc, v7, v5, vcc
	global_store_dwordx2 v[6:7], v[9:10], off
	v_mov_b32_e32 v5, v10
	s_waitcnt vmcnt(0)
	global_atomic_cmpswap_x2 v[4:5], v8, v[2:5], s[6:7] offset:24 glc
	s_waitcnt vmcnt(0)
	v_cmp_ne_u64_e32 vcc, v[4:5], v[9:10]
	s_and_b64 exec, exec, vcc
	s_cbranch_execz .LBB6_851
.LBB6_850:                              ; =>This Inner Loop Header: Depth=1
	s_sleep 1
	global_store_dwordx2 v[6:7], v[4:5], off
	s_waitcnt vmcnt(0)
	global_atomic_cmpswap_x2 v[9:10], v8, v[2:5], s[6:7] offset:24 glc
	s_waitcnt vmcnt(0)
	v_cmp_eq_u64_e32 vcc, v[9:10], v[4:5]
	v_mov_b32_e32 v4, v9
	s_or_b64 s[4:5], vcc, s[4:5]
	v_mov_b32_e32 v5, v10
	s_andn2_b64 exec, exec, s[4:5]
	s_cbranch_execnz .LBB6_850
.LBB6_851:
	s_or_b64 exec, exec, s[20:21]
	s_getpc_b64 s[18:19]
	s_add_u32 s18, s18, .str.7@rel32@lo+4
	s_addc_u32 s19, s19, .str.7@rel32@hi+12
	s_cmp_lg_u64 s[18:19], 0
	s_cbranch_scc0 .LBB6_936
; %bb.852:
	s_waitcnt vmcnt(0)
	v_and_b32_e32 v33, 2, v0
	v_mov_b32_e32 v28, 0
	v_and_b32_e32 v2, -3, v0
	v_mov_b32_e32 v3, v1
	s_mov_b64 s[20:21], 4
	v_mov_b32_e32 v6, 2
	v_mov_b32_e32 v7, 1
	s_branch .LBB6_854
.LBB6_853:                              ;   in Loop: Header=BB6_854 Depth=1
	s_or_b64 exec, exec, s[26:27]
	s_sub_u32 s20, s20, s22
	s_subb_u32 s21, s21, s23
	s_add_u32 s18, s18, s22
	s_addc_u32 s19, s19, s23
	s_cmp_lg_u64 s[20:21], 0
	s_cbranch_scc0 .LBB6_935
.LBB6_854:                              ; =>This Loop Header: Depth=1
                                        ;     Child Loop BB6_857 Depth 2
                                        ;     Child Loop BB6_864 Depth 2
	;; [unrolled: 1-line block ×11, first 2 shown]
	v_cmp_lt_u64_e64 s[4:5], s[20:21], 56
	v_cmp_gt_u64_e64 s[24:25], s[20:21], 7
	s_and_b64 s[4:5], s[4:5], exec
	s_cselect_b32 s23, s21, 0
	s_cselect_b32 s22, s20, 56
	s_and_b64 vcc, exec, s[24:25]
	s_cbranch_vccnz .LBB6_859
; %bb.855:                              ;   in Loop: Header=BB6_854 Depth=1
	v_mov_b32_e32 v10, 0
	s_cmp_eq_u64 s[20:21], 0
	v_mov_b32_e32 v11, 0
	s_mov_b64 s[4:5], 0
	s_cbranch_scc1 .LBB6_858
; %bb.856:                              ;   in Loop: Header=BB6_854 Depth=1
	v_mov_b32_e32 v10, 0
	s_lshl_b64 s[24:25], s[22:23], 3
	s_mov_b64 s[26:27], 0
	v_mov_b32_e32 v11, 0
	s_mov_b64 s[28:29], s[18:19]
.LBB6_857:                              ;   Parent Loop BB6_854 Depth=1
                                        ; =>  This Inner Loop Header: Depth=2
	global_load_ubyte v4, v28, s[28:29]
	s_waitcnt vmcnt(0)
	v_and_b32_e32 v27, 0xffff, v4
	v_lshlrev_b64 v[4:5], s26, v[27:28]
	s_add_u32 s26, s26, 8
	s_addc_u32 s27, s27, 0
	s_add_u32 s28, s28, 1
	s_addc_u32 s29, s29, 0
	v_or_b32_e32 v10, v4, v10
	s_cmp_lg_u32 s24, s26
	v_or_b32_e32 v11, v5, v11
	s_cbranch_scc1 .LBB6_857
.LBB6_858:                              ;   in Loop: Header=BB6_854 Depth=1
	s_mov_b32 s15, 0
	s_andn2_b64 vcc, exec, s[4:5]
	s_mov_b64 s[4:5], s[18:19]
	s_cbranch_vccz .LBB6_860
	s_branch .LBB6_861
.LBB6_859:                              ;   in Loop: Header=BB6_854 Depth=1
                                        ; implicit-def: $vgpr10_vgpr11
                                        ; implicit-def: $sgpr15
	s_mov_b64 s[4:5], s[18:19]
.LBB6_860:                              ;   in Loop: Header=BB6_854 Depth=1
	global_load_dwordx2 v[10:11], v28, s[18:19]
	s_add_i32 s15, s22, -8
	s_add_u32 s4, s18, 8
	s_addc_u32 s5, s19, 0
.LBB6_861:                              ;   in Loop: Header=BB6_854 Depth=1
	s_cmp_gt_u32 s15, 7
	s_cbranch_scc1 .LBB6_865
; %bb.862:                              ;   in Loop: Header=BB6_854 Depth=1
	s_cmp_eq_u32 s15, 0
	s_cbranch_scc1 .LBB6_866
; %bb.863:                              ;   in Loop: Header=BB6_854 Depth=1
	v_mov_b32_e32 v12, 0
	s_mov_b64 s[24:25], 0
	v_mov_b32_e32 v13, 0
	s_mov_b64 s[26:27], 0
.LBB6_864:                              ;   Parent Loop BB6_854 Depth=1
                                        ; =>  This Inner Loop Header: Depth=2
	s_add_u32 s28, s4, s26
	s_addc_u32 s29, s5, s27
	global_load_ubyte v4, v28, s[28:29]
	s_add_u32 s26, s26, 1
	s_addc_u32 s27, s27, 0
	s_waitcnt vmcnt(0)
	v_and_b32_e32 v27, 0xffff, v4
	v_lshlrev_b64 v[4:5], s24, v[27:28]
	s_add_u32 s24, s24, 8
	s_addc_u32 s25, s25, 0
	v_or_b32_e32 v12, v4, v12
	s_cmp_lg_u32 s15, s26
	v_or_b32_e32 v13, v5, v13
	s_cbranch_scc1 .LBB6_864
	s_branch .LBB6_867
.LBB6_865:                              ;   in Loop: Header=BB6_854 Depth=1
                                        ; implicit-def: $vgpr12_vgpr13
                                        ; implicit-def: $sgpr28
	s_branch .LBB6_868
.LBB6_866:                              ;   in Loop: Header=BB6_854 Depth=1
	v_mov_b32_e32 v12, 0
	v_mov_b32_e32 v13, 0
.LBB6_867:                              ;   in Loop: Header=BB6_854 Depth=1
	s_mov_b32 s28, 0
	s_cbranch_execnz .LBB6_869
.LBB6_868:                              ;   in Loop: Header=BB6_854 Depth=1
	global_load_dwordx2 v[12:13], v28, s[4:5]
	s_add_i32 s28, s15, -8
	s_add_u32 s4, s4, 8
	s_addc_u32 s5, s5, 0
.LBB6_869:                              ;   in Loop: Header=BB6_854 Depth=1
	s_cmp_gt_u32 s28, 7
	s_cbranch_scc1 .LBB6_873
; %bb.870:                              ;   in Loop: Header=BB6_854 Depth=1
	s_cmp_eq_u32 s28, 0
	s_cbranch_scc1 .LBB6_874
; %bb.871:                              ;   in Loop: Header=BB6_854 Depth=1
	v_mov_b32_e32 v14, 0
	s_mov_b64 s[24:25], 0
	v_mov_b32_e32 v15, 0
	s_mov_b64 s[26:27], 0
.LBB6_872:                              ;   Parent Loop BB6_854 Depth=1
                                        ; =>  This Inner Loop Header: Depth=2
	s_add_u32 vcc_lo, s4, s26
	s_addc_u32 vcc_hi, s5, s27
	global_load_ubyte v4, v28, vcc
	s_add_u32 s26, s26, 1
	s_addc_u32 s27, s27, 0
	s_waitcnt vmcnt(0)
	v_and_b32_e32 v27, 0xffff, v4
	v_lshlrev_b64 v[4:5], s24, v[27:28]
	s_add_u32 s24, s24, 8
	s_addc_u32 s25, s25, 0
	v_or_b32_e32 v14, v4, v14
	s_cmp_lg_u32 s28, s26
	v_or_b32_e32 v15, v5, v15
	s_cbranch_scc1 .LBB6_872
	s_branch .LBB6_875
.LBB6_873:                              ;   in Loop: Header=BB6_854 Depth=1
                                        ; implicit-def: $sgpr15
	s_branch .LBB6_876
.LBB6_874:                              ;   in Loop: Header=BB6_854 Depth=1
	v_mov_b32_e32 v14, 0
	v_mov_b32_e32 v15, 0
.LBB6_875:                              ;   in Loop: Header=BB6_854 Depth=1
	s_mov_b32 s15, 0
	s_cbranch_execnz .LBB6_877
.LBB6_876:                              ;   in Loop: Header=BB6_854 Depth=1
	global_load_dwordx2 v[14:15], v28, s[4:5]
	s_add_i32 s15, s28, -8
	s_add_u32 s4, s4, 8
	s_addc_u32 s5, s5, 0
.LBB6_877:                              ;   in Loop: Header=BB6_854 Depth=1
	s_cmp_gt_u32 s15, 7
	s_cbranch_scc1 .LBB6_881
; %bb.878:                              ;   in Loop: Header=BB6_854 Depth=1
	s_cmp_eq_u32 s15, 0
	s_cbranch_scc1 .LBB6_882
; %bb.879:                              ;   in Loop: Header=BB6_854 Depth=1
	v_mov_b32_e32 v16, 0
	s_mov_b64 s[24:25], 0
	v_mov_b32_e32 v17, 0
	s_mov_b64 s[26:27], 0
.LBB6_880:                              ;   Parent Loop BB6_854 Depth=1
                                        ; =>  This Inner Loop Header: Depth=2
	s_add_u32 s28, s4, s26
	s_addc_u32 s29, s5, s27
	global_load_ubyte v4, v28, s[28:29]
	s_add_u32 s26, s26, 1
	s_addc_u32 s27, s27, 0
	s_waitcnt vmcnt(0)
	v_and_b32_e32 v27, 0xffff, v4
	v_lshlrev_b64 v[4:5], s24, v[27:28]
	s_add_u32 s24, s24, 8
	s_addc_u32 s25, s25, 0
	v_or_b32_e32 v16, v4, v16
	s_cmp_lg_u32 s15, s26
	v_or_b32_e32 v17, v5, v17
	s_cbranch_scc1 .LBB6_880
	s_branch .LBB6_883
.LBB6_881:                              ;   in Loop: Header=BB6_854 Depth=1
                                        ; implicit-def: $vgpr16_vgpr17
                                        ; implicit-def: $sgpr28
	s_branch .LBB6_884
.LBB6_882:                              ;   in Loop: Header=BB6_854 Depth=1
	v_mov_b32_e32 v16, 0
	v_mov_b32_e32 v17, 0
.LBB6_883:                              ;   in Loop: Header=BB6_854 Depth=1
	s_mov_b32 s28, 0
	s_cbranch_execnz .LBB6_885
.LBB6_884:                              ;   in Loop: Header=BB6_854 Depth=1
	global_load_dwordx2 v[16:17], v28, s[4:5]
	s_add_i32 s28, s15, -8
	s_add_u32 s4, s4, 8
	s_addc_u32 s5, s5, 0
.LBB6_885:                              ;   in Loop: Header=BB6_854 Depth=1
	s_cmp_gt_u32 s28, 7
	s_cbranch_scc1 .LBB6_889
; %bb.886:                              ;   in Loop: Header=BB6_854 Depth=1
	s_cmp_eq_u32 s28, 0
	s_cbranch_scc1 .LBB6_890
; %bb.887:                              ;   in Loop: Header=BB6_854 Depth=1
	v_mov_b32_e32 v18, 0
	s_mov_b64 s[24:25], 0
	v_mov_b32_e32 v19, 0
	s_mov_b64 s[26:27], 0
.LBB6_888:                              ;   Parent Loop BB6_854 Depth=1
                                        ; =>  This Inner Loop Header: Depth=2
	s_add_u32 vcc_lo, s4, s26
	s_addc_u32 vcc_hi, s5, s27
	global_load_ubyte v4, v28, vcc
	s_add_u32 s26, s26, 1
	s_addc_u32 s27, s27, 0
	s_waitcnt vmcnt(0)
	v_and_b32_e32 v27, 0xffff, v4
	v_lshlrev_b64 v[4:5], s24, v[27:28]
	s_add_u32 s24, s24, 8
	s_addc_u32 s25, s25, 0
	v_or_b32_e32 v18, v4, v18
	s_cmp_lg_u32 s28, s26
	v_or_b32_e32 v19, v5, v19
	s_cbranch_scc1 .LBB6_888
	s_branch .LBB6_891
.LBB6_889:                              ;   in Loop: Header=BB6_854 Depth=1
                                        ; implicit-def: $sgpr15
	s_branch .LBB6_892
.LBB6_890:                              ;   in Loop: Header=BB6_854 Depth=1
	v_mov_b32_e32 v18, 0
	v_mov_b32_e32 v19, 0
.LBB6_891:                              ;   in Loop: Header=BB6_854 Depth=1
	s_mov_b32 s15, 0
	s_cbranch_execnz .LBB6_893
.LBB6_892:                              ;   in Loop: Header=BB6_854 Depth=1
	global_load_dwordx2 v[18:19], v28, s[4:5]
	s_add_i32 s15, s28, -8
	s_add_u32 s4, s4, 8
	s_addc_u32 s5, s5, 0
.LBB6_893:                              ;   in Loop: Header=BB6_854 Depth=1
	s_cmp_gt_u32 s15, 7
	s_cbranch_scc1 .LBB6_897
; %bb.894:                              ;   in Loop: Header=BB6_854 Depth=1
	s_cmp_eq_u32 s15, 0
	s_cbranch_scc1 .LBB6_898
; %bb.895:                              ;   in Loop: Header=BB6_854 Depth=1
	v_mov_b32_e32 v20, 0
	s_mov_b64 s[24:25], 0
	v_mov_b32_e32 v21, 0
	s_mov_b64 s[26:27], 0
.LBB6_896:                              ;   Parent Loop BB6_854 Depth=1
                                        ; =>  This Inner Loop Header: Depth=2
	s_add_u32 s28, s4, s26
	s_addc_u32 s29, s5, s27
	global_load_ubyte v4, v28, s[28:29]
	s_add_u32 s26, s26, 1
	s_addc_u32 s27, s27, 0
	s_waitcnt vmcnt(0)
	v_and_b32_e32 v27, 0xffff, v4
	v_lshlrev_b64 v[4:5], s24, v[27:28]
	s_add_u32 s24, s24, 8
	s_addc_u32 s25, s25, 0
	v_or_b32_e32 v20, v4, v20
	s_cmp_lg_u32 s15, s26
	v_or_b32_e32 v21, v5, v21
	s_cbranch_scc1 .LBB6_896
	s_branch .LBB6_899
.LBB6_897:                              ;   in Loop: Header=BB6_854 Depth=1
                                        ; implicit-def: $vgpr20_vgpr21
                                        ; implicit-def: $sgpr28
	s_branch .LBB6_900
.LBB6_898:                              ;   in Loop: Header=BB6_854 Depth=1
	v_mov_b32_e32 v20, 0
	v_mov_b32_e32 v21, 0
.LBB6_899:                              ;   in Loop: Header=BB6_854 Depth=1
	s_mov_b32 s28, 0
	s_cbranch_execnz .LBB6_901
.LBB6_900:                              ;   in Loop: Header=BB6_854 Depth=1
	global_load_dwordx2 v[20:21], v28, s[4:5]
	s_add_i32 s28, s15, -8
	s_add_u32 s4, s4, 8
	s_addc_u32 s5, s5, 0
.LBB6_901:                              ;   in Loop: Header=BB6_854 Depth=1
	s_cmp_gt_u32 s28, 7
	s_cbranch_scc1 .LBB6_905
; %bb.902:                              ;   in Loop: Header=BB6_854 Depth=1
	s_cmp_eq_u32 s28, 0
	s_cbranch_scc1 .LBB6_906
; %bb.903:                              ;   in Loop: Header=BB6_854 Depth=1
	v_mov_b32_e32 v22, 0
	s_mov_b64 s[24:25], 0
	v_mov_b32_e32 v23, 0
	s_mov_b64 s[26:27], s[4:5]
.LBB6_904:                              ;   Parent Loop BB6_854 Depth=1
                                        ; =>  This Inner Loop Header: Depth=2
	global_load_ubyte v4, v28, s[26:27]
	s_add_i32 s28, s28, -1
	s_waitcnt vmcnt(0)
	v_and_b32_e32 v27, 0xffff, v4
	v_lshlrev_b64 v[4:5], s24, v[27:28]
	s_add_u32 s24, s24, 8
	s_addc_u32 s25, s25, 0
	s_add_u32 s26, s26, 1
	s_addc_u32 s27, s27, 0
	v_or_b32_e32 v22, v4, v22
	s_cmp_lg_u32 s28, 0
	v_or_b32_e32 v23, v5, v23
	s_cbranch_scc1 .LBB6_904
	s_branch .LBB6_907
.LBB6_905:                              ;   in Loop: Header=BB6_854 Depth=1
	s_branch .LBB6_908
.LBB6_906:                              ;   in Loop: Header=BB6_854 Depth=1
	v_mov_b32_e32 v22, 0
	v_mov_b32_e32 v23, 0
.LBB6_907:                              ;   in Loop: Header=BB6_854 Depth=1
	s_cbranch_execnz .LBB6_909
.LBB6_908:                              ;   in Loop: Header=BB6_854 Depth=1
	global_load_dwordx2 v[22:23], v28, s[4:5]
.LBB6_909:                              ;   in Loop: Header=BB6_854 Depth=1
	v_readfirstlane_b32 s4, v32
	s_waitcnt vmcnt(0)
	v_mov_b32_e32 v4, 0
	v_mov_b32_e32 v5, 0
	v_cmp_eq_u32_e64 s[4:5], s4, v32
	s_and_saveexec_b64 s[24:25], s[4:5]
	s_cbranch_execz .LBB6_915
; %bb.910:                              ;   in Loop: Header=BB6_854 Depth=1
	global_load_dwordx2 v[26:27], v28, s[6:7] offset:24 glc
	s_waitcnt vmcnt(0)
	buffer_wbinvl1_vol
	global_load_dwordx2 v[4:5], v28, s[6:7] offset:40
	global_load_dwordx2 v[8:9], v28, s[6:7]
	s_waitcnt vmcnt(1)
	v_and_b32_e32 v4, v4, v26
	v_and_b32_e32 v5, v5, v27
	v_mul_lo_u32 v5, v5, 24
	v_mul_hi_u32 v24, v4, 24
	v_mul_lo_u32 v4, v4, 24
	v_add_u32_e32 v5, v24, v5
	s_waitcnt vmcnt(0)
	v_add_co_u32_e32 v4, vcc, v8, v4
	v_addc_co_u32_e32 v5, vcc, v9, v5, vcc
	global_load_dwordx2 v[24:25], v[4:5], off glc
	s_waitcnt vmcnt(0)
	global_atomic_cmpswap_x2 v[4:5], v28, v[24:27], s[6:7] offset:24 glc
	s_waitcnt vmcnt(0)
	buffer_wbinvl1_vol
	v_cmp_ne_u64_e32 vcc, v[4:5], v[26:27]
	s_and_saveexec_b64 s[26:27], vcc
	s_cbranch_execz .LBB6_914
; %bb.911:                              ;   in Loop: Header=BB6_854 Depth=1
	s_mov_b64 s[28:29], 0
.LBB6_912:                              ;   Parent Loop BB6_854 Depth=1
                                        ; =>  This Inner Loop Header: Depth=2
	s_sleep 1
	global_load_dwordx2 v[8:9], v28, s[6:7] offset:40
	global_load_dwordx2 v[24:25], v28, s[6:7]
	v_mov_b32_e32 v27, v5
	v_mov_b32_e32 v26, v4
	s_waitcnt vmcnt(1)
	v_and_b32_e32 v4, v8, v26
	s_waitcnt vmcnt(0)
	v_mad_u64_u32 v[4:5], vcc, v4, 24, v[24:25]
	v_and_b32_e32 v8, v9, v27
	v_mad_u64_u32 v[8:9], vcc, v8, 24, v[5:6]
	v_mov_b32_e32 v5, v8
	global_load_dwordx2 v[24:25], v[4:5], off glc
	s_waitcnt vmcnt(0)
	global_atomic_cmpswap_x2 v[4:5], v28, v[24:27], s[6:7] offset:24 glc
	s_waitcnt vmcnt(0)
	buffer_wbinvl1_vol
	v_cmp_eq_u64_e32 vcc, v[4:5], v[26:27]
	s_or_b64 s[28:29], vcc, s[28:29]
	s_andn2_b64 exec, exec, s[28:29]
	s_cbranch_execnz .LBB6_912
; %bb.913:                              ;   in Loop: Header=BB6_854 Depth=1
	s_or_b64 exec, exec, s[28:29]
.LBB6_914:                              ;   in Loop: Header=BB6_854 Depth=1
	s_or_b64 exec, exec, s[26:27]
.LBB6_915:                              ;   in Loop: Header=BB6_854 Depth=1
	s_or_b64 exec, exec, s[24:25]
	global_load_dwordx2 v[8:9], v28, s[6:7] offset:40
	global_load_dwordx4 v[24:27], v28, s[6:7]
	v_readfirstlane_b32 s24, v4
	v_readfirstlane_b32 s25, v5
	s_mov_b64 s[26:27], exec
	s_waitcnt vmcnt(1)
	v_readfirstlane_b32 s28, v8
	v_readfirstlane_b32 s29, v9
	s_and_b64 s[28:29], s[24:25], s[28:29]
	s_mul_i32 s15, s29, 24
	s_mul_hi_u32 vcc_lo, s28, 24
	s_mul_i32 vcc_hi, s28, 24
	s_add_i32 s15, vcc_lo, s15
	v_mov_b32_e32 v4, s15
	s_waitcnt vmcnt(0)
	v_add_co_u32_e32 v29, vcc, vcc_hi, v24
	v_addc_co_u32_e32 v30, vcc, v25, v4, vcc
	s_and_saveexec_b64 vcc, s[4:5]
	s_cbranch_execz .LBB6_917
; %bb.916:                              ;   in Loop: Header=BB6_854 Depth=1
	v_mov_b32_e32 v4, s26
	v_mov_b32_e32 v5, s27
	global_store_dwordx4 v[29:30], v[4:7], off offset:8
.LBB6_917:                              ;   in Loop: Header=BB6_854 Depth=1
	s_or_b64 exec, exec, vcc
	s_lshl_b64 s[26:27], s[28:29], 12
	v_mov_b32_e32 v4, s27
	v_add_co_u32_e32 v26, vcc, s26, v26
	v_addc_co_u32_e32 v34, vcc, v27, v4, vcc
	v_cmp_gt_u64_e64 vcc, s[20:21], 56
	v_or_b32_e32 v5, v2, v33
	s_lshl_b32 s15, s22, 2
	v_cndmask_b32_e32 v2, v5, v2, vcc
	s_add_i32 s15, s15, 28
	v_or_b32_e32 v4, 0, v3
	s_and_b32 s15, s15, 0x1e0
	v_and_b32_e32 v2, 0xffffff1f, v2
	v_cndmask_b32_e32 v9, v4, v3, vcc
	v_or_b32_e32 v8, s15, v2
	v_readfirstlane_b32 s26, v26
	v_readfirstlane_b32 s27, v34
	s_nop 4
	global_store_dwordx4 v31, v[8:11], s[26:27]
	global_store_dwordx4 v31, v[12:15], s[26:27] offset:16
	global_store_dwordx4 v31, v[16:19], s[26:27] offset:32
	;; [unrolled: 1-line block ×3, first 2 shown]
	s_and_saveexec_b64 s[26:27], s[4:5]
	s_cbranch_execz .LBB6_925
; %bb.918:                              ;   in Loop: Header=BB6_854 Depth=1
	global_load_dwordx2 v[12:13], v28, s[6:7] offset:32 glc
	global_load_dwordx2 v[2:3], v28, s[6:7] offset:40
	v_mov_b32_e32 v10, s24
	v_mov_b32_e32 v11, s25
	s_waitcnt vmcnt(0)
	v_readfirstlane_b32 s28, v2
	v_readfirstlane_b32 s29, v3
	s_and_b64 s[28:29], s[28:29], s[24:25]
	s_mul_i32 s15, s29, 24
	s_mul_hi_u32 s29, s28, 24
	s_mul_i32 s28, s28, 24
	s_add_i32 s15, s29, s15
	v_mov_b32_e32 v2, s15
	v_add_co_u32_e32 v8, vcc, s28, v24
	v_addc_co_u32_e32 v9, vcc, v25, v2, vcc
	global_store_dwordx2 v[8:9], v[12:13], off
	s_waitcnt vmcnt(0)
	global_atomic_cmpswap_x2 v[4:5], v28, v[10:13], s[6:7] offset:32 glc
	s_waitcnt vmcnt(0)
	v_cmp_ne_u64_e32 vcc, v[4:5], v[12:13]
	s_and_saveexec_b64 s[28:29], vcc
	s_cbranch_execz .LBB6_921
; %bb.919:                              ;   in Loop: Header=BB6_854 Depth=1
	s_mov_b64 s[30:31], 0
.LBB6_920:                              ;   Parent Loop BB6_854 Depth=1
                                        ; =>  This Inner Loop Header: Depth=2
	s_sleep 1
	global_store_dwordx2 v[8:9], v[4:5], off
	v_mov_b32_e32 v2, s24
	v_mov_b32_e32 v3, s25
	s_waitcnt vmcnt(0)
	global_atomic_cmpswap_x2 v[2:3], v28, v[2:5], s[6:7] offset:32 glc
	s_waitcnt vmcnt(0)
	v_cmp_eq_u64_e32 vcc, v[2:3], v[4:5]
	v_mov_b32_e32 v5, v3
	s_or_b64 s[30:31], vcc, s[30:31]
	v_mov_b32_e32 v4, v2
	s_andn2_b64 exec, exec, s[30:31]
	s_cbranch_execnz .LBB6_920
.LBB6_921:                              ;   in Loop: Header=BB6_854 Depth=1
	s_or_b64 exec, exec, s[28:29]
	global_load_dwordx2 v[2:3], v28, s[6:7] offset:16
	s_mov_b64 s[30:31], exec
	v_mbcnt_lo_u32_b32 v4, s30, 0
	v_mbcnt_hi_u32_b32 v4, s31, v4
	v_cmp_eq_u32_e32 vcc, 0, v4
	s_and_saveexec_b64 s[28:29], vcc
	s_cbranch_execz .LBB6_923
; %bb.922:                              ;   in Loop: Header=BB6_854 Depth=1
	s_bcnt1_i32_b64 s15, s[30:31]
	v_mov_b32_e32 v27, s15
	s_waitcnt vmcnt(0)
	global_atomic_add_x2 v[2:3], v[27:28], off offset:8
.LBB6_923:                              ;   in Loop: Header=BB6_854 Depth=1
	s_or_b64 exec, exec, s[28:29]
	s_waitcnt vmcnt(0)
	global_load_dwordx2 v[4:5], v[2:3], off offset:16
	s_waitcnt vmcnt(0)
	v_cmp_eq_u64_e32 vcc, 0, v[4:5]
	s_cbranch_vccnz .LBB6_925
; %bb.924:                              ;   in Loop: Header=BB6_854 Depth=1
	global_load_dword v27, v[2:3], off offset:24
	s_waitcnt vmcnt(0)
	v_and_b32_e32 v2, 0xffffff, v27
	v_readfirstlane_b32 m0, v2
	global_store_dwordx2 v[4:5], v[27:28], off
	s_sendmsg sendmsg(MSG_INTERRUPT)
.LBB6_925:                              ;   in Loop: Header=BB6_854 Depth=1
	s_or_b64 exec, exec, s[26:27]
	v_add_co_u32_e32 v2, vcc, v26, v31
	v_addc_co_u32_e32 v3, vcc, 0, v34, vcc
	s_branch .LBB6_929
.LBB6_926:                              ;   in Loop: Header=BB6_929 Depth=2
	s_or_b64 exec, exec, s[26:27]
	v_readfirstlane_b32 s15, v4
	s_cmp_eq_u32 s15, 0
	s_cbranch_scc1 .LBB6_928
; %bb.927:                              ;   in Loop: Header=BB6_929 Depth=2
	s_sleep 1
	s_cbranch_execnz .LBB6_929
	s_branch .LBB6_931
.LBB6_928:                              ;   in Loop: Header=BB6_854 Depth=1
	s_branch .LBB6_931
.LBB6_929:                              ;   Parent Loop BB6_854 Depth=1
                                        ; =>  This Inner Loop Header: Depth=2
	v_mov_b32_e32 v4, 1
	s_and_saveexec_b64 s[26:27], s[4:5]
	s_cbranch_execz .LBB6_926
; %bb.930:                              ;   in Loop: Header=BB6_929 Depth=2
	global_load_dword v4, v[29:30], off offset:20 glc
	s_waitcnt vmcnt(0)
	buffer_wbinvl1_vol
	v_and_b32_e32 v4, 1, v4
	s_branch .LBB6_926
.LBB6_931:                              ;   in Loop: Header=BB6_854 Depth=1
	global_load_dwordx4 v[2:5], v[2:3], off
	s_and_saveexec_b64 s[26:27], s[4:5]
	s_cbranch_execz .LBB6_853
; %bb.932:                              ;   in Loop: Header=BB6_854 Depth=1
	global_load_dwordx2 v[4:5], v28, s[6:7] offset:40
	global_load_dwordx2 v[12:13], v28, s[6:7] offset:24 glc
	global_load_dwordx2 v[14:15], v28, s[6:7]
	v_mov_b32_e32 v9, s25
	s_waitcnt vmcnt(2)
	v_add_co_u32_e32 v10, vcc, 1, v4
	v_addc_co_u32_e32 v11, vcc, 0, v5, vcc
	v_add_co_u32_e32 v8, vcc, s24, v10
	v_addc_co_u32_e32 v9, vcc, v11, v9, vcc
	v_cmp_eq_u64_e32 vcc, 0, v[8:9]
	v_cndmask_b32_e32 v9, v9, v11, vcc
	v_cndmask_b32_e32 v8, v8, v10, vcc
	v_and_b32_e32 v5, v9, v5
	v_and_b32_e32 v4, v8, v4
	v_mul_lo_u32 v5, v5, 24
	v_mul_hi_u32 v11, v4, 24
	v_mul_lo_u32 v4, v4, 24
	s_waitcnt vmcnt(1)
	v_mov_b32_e32 v10, v12
	v_add_u32_e32 v5, v11, v5
	s_waitcnt vmcnt(0)
	v_add_co_u32_e32 v4, vcc, v14, v4
	v_addc_co_u32_e32 v5, vcc, v15, v5, vcc
	global_store_dwordx2 v[4:5], v[12:13], off
	v_mov_b32_e32 v11, v13
	s_waitcnt vmcnt(0)
	global_atomic_cmpswap_x2 v[10:11], v28, v[8:11], s[6:7] offset:24 glc
	s_waitcnt vmcnt(0)
	v_cmp_ne_u64_e32 vcc, v[10:11], v[12:13]
	s_and_b64 exec, exec, vcc
	s_cbranch_execz .LBB6_853
; %bb.933:                              ;   in Loop: Header=BB6_854 Depth=1
	s_mov_b64 s[4:5], 0
.LBB6_934:                              ;   Parent Loop BB6_854 Depth=1
                                        ; =>  This Inner Loop Header: Depth=2
	s_sleep 1
	global_store_dwordx2 v[4:5], v[10:11], off
	s_waitcnt vmcnt(0)
	global_atomic_cmpswap_x2 v[12:13], v28, v[8:11], s[6:7] offset:24 glc
	s_waitcnt vmcnt(0)
	v_cmp_eq_u64_e32 vcc, v[12:13], v[10:11]
	v_mov_b32_e32 v10, v12
	s_or_b64 s[4:5], vcc, s[4:5]
	v_mov_b32_e32 v11, v13
	s_andn2_b64 exec, exec, s[4:5]
	s_cbranch_execnz .LBB6_934
	s_branch .LBB6_853
.LBB6_935:
	s_branch .LBB6_963
.LBB6_936:
                                        ; implicit-def: $vgpr2_vgpr3
	s_cbranch_execz .LBB6_963
; %bb.937:
	v_readfirstlane_b32 s4, v32
	v_mov_b32_e32 v8, 0
	v_mov_b32_e32 v9, 0
	v_cmp_eq_u32_e64 s[4:5], s4, v32
	s_and_saveexec_b64 s[18:19], s[4:5]
	s_cbranch_execz .LBB6_943
; %bb.938:
	s_waitcnt vmcnt(0)
	v_mov_b32_e32 v2, 0
	global_load_dwordx2 v[5:6], v2, s[6:7] offset:24 glc
	s_waitcnt vmcnt(0)
	buffer_wbinvl1_vol
	global_load_dwordx2 v[3:4], v2, s[6:7] offset:40
	global_load_dwordx2 v[7:8], v2, s[6:7]
	s_waitcnt vmcnt(1)
	v_and_b32_e32 v3, v3, v5
	v_and_b32_e32 v4, v4, v6
	v_mul_lo_u32 v4, v4, 24
	v_mul_hi_u32 v9, v3, 24
	v_mul_lo_u32 v3, v3, 24
	v_add_u32_e32 v4, v9, v4
	s_waitcnt vmcnt(0)
	v_add_co_u32_e32 v3, vcc, v7, v3
	v_addc_co_u32_e32 v4, vcc, v8, v4, vcc
	global_load_dwordx2 v[3:4], v[3:4], off glc
	s_waitcnt vmcnt(0)
	global_atomic_cmpswap_x2 v[8:9], v2, v[3:6], s[6:7] offset:24 glc
	s_waitcnt vmcnt(0)
	buffer_wbinvl1_vol
	v_cmp_ne_u64_e32 vcc, v[8:9], v[5:6]
	s_and_saveexec_b64 s[20:21], vcc
	s_cbranch_execz .LBB6_942
; %bb.939:
	s_mov_b64 s[22:23], 0
.LBB6_940:                              ; =>This Inner Loop Header: Depth=1
	s_sleep 1
	global_load_dwordx2 v[3:4], v2, s[6:7] offset:40
	global_load_dwordx2 v[10:11], v2, s[6:7]
	v_mov_b32_e32 v5, v8
	v_mov_b32_e32 v6, v9
	s_waitcnt vmcnt(1)
	v_and_b32_e32 v3, v3, v5
	s_waitcnt vmcnt(0)
	v_mad_u64_u32 v[7:8], s[24:25], v3, 24, v[10:11]
	v_and_b32_e32 v4, v4, v6
	v_mov_b32_e32 v3, v8
	v_mad_u64_u32 v[3:4], s[24:25], v4, 24, v[3:4]
	v_mov_b32_e32 v8, v3
	global_load_dwordx2 v[3:4], v[7:8], off glc
	s_waitcnt vmcnt(0)
	global_atomic_cmpswap_x2 v[8:9], v2, v[3:6], s[6:7] offset:24 glc
	s_waitcnt vmcnt(0)
	buffer_wbinvl1_vol
	v_cmp_eq_u64_e32 vcc, v[8:9], v[5:6]
	s_or_b64 s[22:23], vcc, s[22:23]
	s_andn2_b64 exec, exec, s[22:23]
	s_cbranch_execnz .LBB6_940
; %bb.941:
	s_or_b64 exec, exec, s[22:23]
.LBB6_942:
	s_or_b64 exec, exec, s[20:21]
.LBB6_943:
	s_or_b64 exec, exec, s[18:19]
	s_waitcnt vmcnt(0)
	v_mov_b32_e32 v2, 0
	global_load_dwordx2 v[10:11], v2, s[6:7] offset:40
	global_load_dwordx4 v[4:7], v2, s[6:7]
	v_readfirstlane_b32 s18, v8
	v_readfirstlane_b32 s19, v9
	s_mov_b64 s[20:21], exec
	s_waitcnt vmcnt(1)
	v_readfirstlane_b32 s22, v10
	v_readfirstlane_b32 s23, v11
	s_and_b64 s[22:23], s[18:19], s[22:23]
	s_mul_i32 s15, s23, 24
	s_mul_hi_u32 s24, s22, 24
	s_mul_i32 s25, s22, 24
	s_add_i32 s15, s24, s15
	v_mov_b32_e32 v3, s15
	s_waitcnt vmcnt(0)
	v_add_co_u32_e32 v8, vcc, s25, v4
	v_addc_co_u32_e32 v9, vcc, v5, v3, vcc
	s_and_saveexec_b64 s[24:25], s[4:5]
	s_cbranch_execz .LBB6_945
; %bb.944:
	v_mov_b32_e32 v10, s20
	v_mov_b32_e32 v11, s21
	;; [unrolled: 1-line block ×4, first 2 shown]
	global_store_dwordx4 v[8:9], v[10:13], off offset:8
.LBB6_945:
	s_or_b64 exec, exec, s[24:25]
	s_lshl_b64 s[20:21], s[22:23], 12
	v_mov_b32_e32 v3, s21
	v_add_co_u32_e32 v10, vcc, s20, v6
	v_addc_co_u32_e32 v11, vcc, v7, v3, vcc
	s_movk_i32 s15, 0xff1f
	v_and_or_b32 v0, v0, s15, 32
	s_mov_b32 s20, 0
	v_mov_b32_e32 v3, v2
	v_readfirstlane_b32 s24, v10
	v_readfirstlane_b32 s25, v11
	v_add_co_u32_e32 v6, vcc, v10, v31
	s_mov_b32 s21, s20
	s_mov_b32 s22, s20
	;; [unrolled: 1-line block ×3, first 2 shown]
	s_nop 0
	global_store_dwordx4 v31, v[0:3], s[24:25]
	v_addc_co_u32_e32 v7, vcc, 0, v11, vcc
	v_mov_b32_e32 v0, s20
	v_mov_b32_e32 v1, s21
	;; [unrolled: 1-line block ×4, first 2 shown]
	global_store_dwordx4 v31, v[0:3], s[24:25] offset:16
	global_store_dwordx4 v31, v[0:3], s[24:25] offset:32
	;; [unrolled: 1-line block ×3, first 2 shown]
	s_and_saveexec_b64 s[20:21], s[4:5]
	s_cbranch_execz .LBB6_953
; %bb.946:
	v_mov_b32_e32 v10, 0
	global_load_dwordx2 v[13:14], v10, s[6:7] offset:32 glc
	global_load_dwordx2 v[0:1], v10, s[6:7] offset:40
	v_mov_b32_e32 v11, s18
	v_mov_b32_e32 v12, s19
	s_waitcnt vmcnt(0)
	v_readfirstlane_b32 s22, v0
	v_readfirstlane_b32 s23, v1
	s_and_b64 s[22:23], s[22:23], s[18:19]
	s_mul_i32 s15, s23, 24
	s_mul_hi_u32 s23, s22, 24
	s_mul_i32 s22, s22, 24
	s_add_i32 s15, s23, s15
	v_mov_b32_e32 v0, s15
	v_add_co_u32_e32 v4, vcc, s22, v4
	v_addc_co_u32_e32 v5, vcc, v5, v0, vcc
	global_store_dwordx2 v[4:5], v[13:14], off
	s_waitcnt vmcnt(0)
	global_atomic_cmpswap_x2 v[2:3], v10, v[11:14], s[6:7] offset:32 glc
	s_waitcnt vmcnt(0)
	v_cmp_ne_u64_e32 vcc, v[2:3], v[13:14]
	s_and_saveexec_b64 s[22:23], vcc
	s_cbranch_execz .LBB6_949
; %bb.947:
	s_mov_b64 s[24:25], 0
.LBB6_948:                              ; =>This Inner Loop Header: Depth=1
	s_sleep 1
	global_store_dwordx2 v[4:5], v[2:3], off
	v_mov_b32_e32 v0, s18
	v_mov_b32_e32 v1, s19
	s_waitcnt vmcnt(0)
	global_atomic_cmpswap_x2 v[0:1], v10, v[0:3], s[6:7] offset:32 glc
	s_waitcnt vmcnt(0)
	v_cmp_eq_u64_e32 vcc, v[0:1], v[2:3]
	v_mov_b32_e32 v3, v1
	s_or_b64 s[24:25], vcc, s[24:25]
	v_mov_b32_e32 v2, v0
	s_andn2_b64 exec, exec, s[24:25]
	s_cbranch_execnz .LBB6_948
.LBB6_949:
	s_or_b64 exec, exec, s[22:23]
	v_mov_b32_e32 v3, 0
	global_load_dwordx2 v[0:1], v3, s[6:7] offset:16
	s_mov_b64 s[22:23], exec
	v_mbcnt_lo_u32_b32 v2, s22, 0
	v_mbcnt_hi_u32_b32 v2, s23, v2
	v_cmp_eq_u32_e32 vcc, 0, v2
	s_and_saveexec_b64 s[24:25], vcc
	s_cbranch_execz .LBB6_951
; %bb.950:
	s_bcnt1_i32_b64 s15, s[22:23]
	v_mov_b32_e32 v2, s15
	s_waitcnt vmcnt(0)
	global_atomic_add_x2 v[0:1], v[2:3], off offset:8
.LBB6_951:
	s_or_b64 exec, exec, s[24:25]
	s_waitcnt vmcnt(0)
	global_load_dwordx2 v[2:3], v[0:1], off offset:16
	s_waitcnt vmcnt(0)
	v_cmp_eq_u64_e32 vcc, 0, v[2:3]
	s_cbranch_vccnz .LBB6_953
; %bb.952:
	global_load_dword v0, v[0:1], off offset:24
	v_mov_b32_e32 v1, 0
	s_waitcnt vmcnt(0)
	global_store_dwordx2 v[2:3], v[0:1], off
	v_and_b32_e32 v0, 0xffffff, v0
	v_readfirstlane_b32 m0, v0
	s_sendmsg sendmsg(MSG_INTERRUPT)
.LBB6_953:
	s_or_b64 exec, exec, s[20:21]
	s_branch .LBB6_957
.LBB6_954:                              ;   in Loop: Header=BB6_957 Depth=1
	s_or_b64 exec, exec, s[20:21]
	v_readfirstlane_b32 s15, v0
	s_cmp_eq_u32 s15, 0
	s_cbranch_scc1 .LBB6_956
; %bb.955:                              ;   in Loop: Header=BB6_957 Depth=1
	s_sleep 1
	s_cbranch_execnz .LBB6_957
	s_branch .LBB6_959
.LBB6_956:
	s_branch .LBB6_959
.LBB6_957:                              ; =>This Inner Loop Header: Depth=1
	v_mov_b32_e32 v0, 1
	s_and_saveexec_b64 s[20:21], s[4:5]
	s_cbranch_execz .LBB6_954
; %bb.958:                              ;   in Loop: Header=BB6_957 Depth=1
	global_load_dword v0, v[8:9], off offset:20 glc
	s_waitcnt vmcnt(0)
	buffer_wbinvl1_vol
	v_and_b32_e32 v0, 1, v0
	s_branch .LBB6_954
.LBB6_959:
	global_load_dwordx2 v[2:3], v[6:7], off
	s_and_saveexec_b64 s[20:21], s[4:5]
	s_cbranch_execz .LBB6_962
; %bb.960:
	v_mov_b32_e32 v8, 0
	global_load_dwordx2 v[0:1], v8, s[6:7] offset:40
	global_load_dwordx2 v[9:10], v8, s[6:7] offset:24 glc
	global_load_dwordx2 v[11:12], v8, s[6:7]
	v_mov_b32_e32 v5, s19
	s_mov_b64 s[4:5], 0
	s_waitcnt vmcnt(2)
	v_add_co_u32_e32 v6, vcc, 1, v0
	v_addc_co_u32_e32 v7, vcc, 0, v1, vcc
	v_add_co_u32_e32 v4, vcc, s18, v6
	v_addc_co_u32_e32 v5, vcc, v7, v5, vcc
	v_cmp_eq_u64_e32 vcc, 0, v[4:5]
	v_cndmask_b32_e32 v5, v5, v7, vcc
	v_cndmask_b32_e32 v4, v4, v6, vcc
	v_and_b32_e32 v1, v5, v1
	v_and_b32_e32 v0, v4, v0
	v_mul_lo_u32 v1, v1, 24
	v_mul_hi_u32 v7, v0, 24
	v_mul_lo_u32 v0, v0, 24
	s_waitcnt vmcnt(1)
	v_mov_b32_e32 v6, v9
	v_add_u32_e32 v1, v7, v1
	s_waitcnt vmcnt(0)
	v_add_co_u32_e32 v0, vcc, v11, v0
	v_addc_co_u32_e32 v1, vcc, v12, v1, vcc
	global_store_dwordx2 v[0:1], v[9:10], off
	v_mov_b32_e32 v7, v10
	s_waitcnt vmcnt(0)
	global_atomic_cmpswap_x2 v[6:7], v8, v[4:7], s[6:7] offset:24 glc
	s_waitcnt vmcnt(0)
	v_cmp_ne_u64_e32 vcc, v[6:7], v[9:10]
	s_and_b64 exec, exec, vcc
	s_cbranch_execz .LBB6_962
.LBB6_961:                              ; =>This Inner Loop Header: Depth=1
	s_sleep 1
	global_store_dwordx2 v[0:1], v[6:7], off
	s_waitcnt vmcnt(0)
	global_atomic_cmpswap_x2 v[9:10], v8, v[4:7], s[6:7] offset:24 glc
	s_waitcnt vmcnt(0)
	v_cmp_eq_u64_e32 vcc, v[9:10], v[6:7]
	v_mov_b32_e32 v6, v9
	s_or_b64 s[4:5], vcc, s[4:5]
	v_mov_b32_e32 v7, v10
	s_andn2_b64 exec, exec, s[4:5]
	s_cbranch_execnz .LBB6_961
.LBB6_962:
	s_or_b64 exec, exec, s[20:21]
.LBB6_963:
	v_readfirstlane_b32 s4, v32
	s_waitcnt vmcnt(0)
	v_mov_b32_e32 v0, 0
	v_mov_b32_e32 v1, 0
	v_cmp_eq_u32_e64 s[4:5], s4, v32
	s_and_saveexec_b64 s[18:19], s[4:5]
	s_cbranch_execz .LBB6_969
; %bb.964:
	v_mov_b32_e32 v4, 0
	global_load_dwordx2 v[7:8], v4, s[6:7] offset:24 glc
	s_waitcnt vmcnt(0)
	buffer_wbinvl1_vol
	global_load_dwordx2 v[0:1], v4, s[6:7] offset:40
	global_load_dwordx2 v[5:6], v4, s[6:7]
	s_waitcnt vmcnt(1)
	v_and_b32_e32 v0, v0, v7
	v_and_b32_e32 v1, v1, v8
	v_mul_lo_u32 v1, v1, 24
	v_mul_hi_u32 v9, v0, 24
	v_mul_lo_u32 v0, v0, 24
	v_add_u32_e32 v1, v9, v1
	s_waitcnt vmcnt(0)
	v_add_co_u32_e32 v0, vcc, v5, v0
	v_addc_co_u32_e32 v1, vcc, v6, v1, vcc
	global_load_dwordx2 v[5:6], v[0:1], off glc
	s_waitcnt vmcnt(0)
	global_atomic_cmpswap_x2 v[0:1], v4, v[5:8], s[6:7] offset:24 glc
	s_waitcnt vmcnt(0)
	buffer_wbinvl1_vol
	v_cmp_ne_u64_e32 vcc, v[0:1], v[7:8]
	s_and_saveexec_b64 s[20:21], vcc
	s_cbranch_execz .LBB6_968
; %bb.965:
	s_mov_b64 s[22:23], 0
.LBB6_966:                              ; =>This Inner Loop Header: Depth=1
	s_sleep 1
	global_load_dwordx2 v[5:6], v4, s[6:7] offset:40
	global_load_dwordx2 v[9:10], v4, s[6:7]
	v_mov_b32_e32 v8, v1
	v_mov_b32_e32 v7, v0
	s_waitcnt vmcnt(1)
	v_and_b32_e32 v0, v5, v7
	s_waitcnt vmcnt(0)
	v_mad_u64_u32 v[0:1], s[24:25], v0, 24, v[9:10]
	v_and_b32_e32 v5, v6, v8
	v_mad_u64_u32 v[5:6], s[24:25], v5, 24, v[1:2]
	v_mov_b32_e32 v1, v5
	global_load_dwordx2 v[5:6], v[0:1], off glc
	s_waitcnt vmcnt(0)
	global_atomic_cmpswap_x2 v[0:1], v4, v[5:8], s[6:7] offset:24 glc
	s_waitcnt vmcnt(0)
	buffer_wbinvl1_vol
	v_cmp_eq_u64_e32 vcc, v[0:1], v[7:8]
	s_or_b64 s[22:23], vcc, s[22:23]
	s_andn2_b64 exec, exec, s[22:23]
	s_cbranch_execnz .LBB6_966
; %bb.967:
	s_or_b64 exec, exec, s[22:23]
.LBB6_968:
	s_or_b64 exec, exec, s[20:21]
.LBB6_969:
	s_or_b64 exec, exec, s[18:19]
	v_mov_b32_e32 v5, 0
	global_load_dwordx2 v[10:11], v5, s[6:7] offset:40
	global_load_dwordx4 v[6:9], v5, s[6:7]
	v_readfirstlane_b32 s18, v0
	v_readfirstlane_b32 s19, v1
	s_mov_b64 s[20:21], exec
	s_waitcnt vmcnt(1)
	v_readfirstlane_b32 s22, v10
	v_readfirstlane_b32 s23, v11
	s_and_b64 s[22:23], s[18:19], s[22:23]
	s_mul_i32 s15, s23, 24
	s_mul_hi_u32 s24, s22, 24
	s_mul_i32 s25, s22, 24
	s_add_i32 s15, s24, s15
	v_mov_b32_e32 v0, s15
	s_waitcnt vmcnt(0)
	v_add_co_u32_e32 v10, vcc, s25, v6
	v_addc_co_u32_e32 v11, vcc, v7, v0, vcc
	s_and_saveexec_b64 s[24:25], s[4:5]
	s_cbranch_execz .LBB6_971
; %bb.970:
	v_mov_b32_e32 v12, s20
	v_mov_b32_e32 v13, s21
	;; [unrolled: 1-line block ×4, first 2 shown]
	global_store_dwordx4 v[10:11], v[12:15], off offset:8
.LBB6_971:
	s_or_b64 exec, exec, s[24:25]
	s_lshl_b64 s[20:21], s[22:23], 12
	v_mov_b32_e32 v0, s21
	v_add_co_u32_e32 v1, vcc, s20, v8
	v_addc_co_u32_e32 v0, vcc, v9, v0, vcc
	s_movk_i32 s15, 0xff1d
	v_and_or_b32 v2, v2, s15, 34
	s_mov_b32 s20, 0
	v_mov_b32_e32 v4, 0x386
	v_readfirstlane_b32 s24, v1
	v_readfirstlane_b32 s25, v0
	s_mov_b32 s21, s20
	s_mov_b32 s22, s20
	;; [unrolled: 1-line block ×3, first 2 shown]
	s_nop 1
	global_store_dwordx4 v31, v[2:5], s[24:25]
	v_mov_b32_e32 v0, s20
	v_mov_b32_e32 v1, s21
	;; [unrolled: 1-line block ×4, first 2 shown]
	global_store_dwordx4 v31, v[0:3], s[24:25] offset:16
	global_store_dwordx4 v31, v[0:3], s[24:25] offset:32
	;; [unrolled: 1-line block ×3, first 2 shown]
	s_and_saveexec_b64 s[20:21], s[4:5]
	s_cbranch_execz .LBB6_979
; %bb.972:
	v_mov_b32_e32 v8, 0
	global_load_dwordx2 v[14:15], v8, s[6:7] offset:32 glc
	global_load_dwordx2 v[0:1], v8, s[6:7] offset:40
	v_mov_b32_e32 v12, s18
	v_mov_b32_e32 v13, s19
	s_waitcnt vmcnt(0)
	v_readfirstlane_b32 s22, v0
	v_readfirstlane_b32 s23, v1
	s_and_b64 s[22:23], s[22:23], s[18:19]
	s_mul_i32 s15, s23, 24
	s_mul_hi_u32 s23, s22, 24
	s_mul_i32 s22, s22, 24
	s_add_i32 s15, s23, s15
	v_mov_b32_e32 v0, s15
	v_add_co_u32_e32 v4, vcc, s22, v6
	v_addc_co_u32_e32 v5, vcc, v7, v0, vcc
	global_store_dwordx2 v[4:5], v[14:15], off
	s_waitcnt vmcnt(0)
	global_atomic_cmpswap_x2 v[2:3], v8, v[12:15], s[6:7] offset:32 glc
	s_waitcnt vmcnt(0)
	v_cmp_ne_u64_e32 vcc, v[2:3], v[14:15]
	s_and_saveexec_b64 s[22:23], vcc
	s_cbranch_execz .LBB6_975
; %bb.973:
	s_mov_b64 s[24:25], 0
.LBB6_974:                              ; =>This Inner Loop Header: Depth=1
	s_sleep 1
	global_store_dwordx2 v[4:5], v[2:3], off
	v_mov_b32_e32 v0, s18
	v_mov_b32_e32 v1, s19
	s_waitcnt vmcnt(0)
	global_atomic_cmpswap_x2 v[0:1], v8, v[0:3], s[6:7] offset:32 glc
	s_waitcnt vmcnt(0)
	v_cmp_eq_u64_e32 vcc, v[0:1], v[2:3]
	v_mov_b32_e32 v3, v1
	s_or_b64 s[24:25], vcc, s[24:25]
	v_mov_b32_e32 v2, v0
	s_andn2_b64 exec, exec, s[24:25]
	s_cbranch_execnz .LBB6_974
.LBB6_975:
	s_or_b64 exec, exec, s[22:23]
	v_mov_b32_e32 v3, 0
	global_load_dwordx2 v[0:1], v3, s[6:7] offset:16
	s_mov_b64 s[22:23], exec
	v_mbcnt_lo_u32_b32 v2, s22, 0
	v_mbcnt_hi_u32_b32 v2, s23, v2
	v_cmp_eq_u32_e32 vcc, 0, v2
	s_and_saveexec_b64 s[24:25], vcc
	s_cbranch_execz .LBB6_977
; %bb.976:
	s_bcnt1_i32_b64 s15, s[22:23]
	v_mov_b32_e32 v2, s15
	s_waitcnt vmcnt(0)
	global_atomic_add_x2 v[0:1], v[2:3], off offset:8
.LBB6_977:
	s_or_b64 exec, exec, s[24:25]
	s_waitcnt vmcnt(0)
	global_load_dwordx2 v[2:3], v[0:1], off offset:16
	s_waitcnt vmcnt(0)
	v_cmp_eq_u64_e32 vcc, 0, v[2:3]
	s_cbranch_vccnz .LBB6_979
; %bb.978:
	global_load_dword v0, v[0:1], off offset:24
	v_mov_b32_e32 v1, 0
	s_waitcnt vmcnt(0)
	global_store_dwordx2 v[2:3], v[0:1], off
	v_and_b32_e32 v0, 0xffffff, v0
	v_readfirstlane_b32 m0, v0
	s_sendmsg sendmsg(MSG_INTERRUPT)
.LBB6_979:
	s_or_b64 exec, exec, s[20:21]
	s_branch .LBB6_983
.LBB6_980:                              ;   in Loop: Header=BB6_983 Depth=1
	s_or_b64 exec, exec, s[20:21]
	v_readfirstlane_b32 s15, v0
	s_cmp_eq_u32 s15, 0
	s_cbranch_scc1 .LBB6_982
; %bb.981:                              ;   in Loop: Header=BB6_983 Depth=1
	s_sleep 1
	s_cbranch_execnz .LBB6_983
	s_branch .LBB6_985
.LBB6_982:
	s_branch .LBB6_985
.LBB6_983:                              ; =>This Inner Loop Header: Depth=1
	v_mov_b32_e32 v0, 1
	s_and_saveexec_b64 s[20:21], s[4:5]
	s_cbranch_execz .LBB6_980
; %bb.984:                              ;   in Loop: Header=BB6_983 Depth=1
	global_load_dword v0, v[10:11], off offset:20 glc
	s_waitcnt vmcnt(0)
	buffer_wbinvl1_vol
	v_and_b32_e32 v0, 1, v0
	s_branch .LBB6_980
.LBB6_985:
	s_and_saveexec_b64 s[20:21], s[4:5]
	s_cbranch_execz .LBB6_988
; %bb.986:
	v_mov_b32_e32 v6, 0
	global_load_dwordx2 v[2:3], v6, s[6:7] offset:40
	global_load_dwordx2 v[7:8], v6, s[6:7] offset:24 glc
	global_load_dwordx2 v[4:5], v6, s[6:7]
	v_mov_b32_e32 v1, s19
	s_mov_b64 s[4:5], 0
	s_waitcnt vmcnt(2)
	v_add_co_u32_e32 v9, vcc, 1, v2
	v_addc_co_u32_e32 v10, vcc, 0, v3, vcc
	v_add_co_u32_e32 v0, vcc, s18, v9
	v_addc_co_u32_e32 v1, vcc, v10, v1, vcc
	v_cmp_eq_u64_e32 vcc, 0, v[0:1]
	v_cndmask_b32_e32 v1, v1, v10, vcc
	v_cndmask_b32_e32 v0, v0, v9, vcc
	v_and_b32_e32 v3, v1, v3
	v_and_b32_e32 v2, v0, v2
	v_mul_lo_u32 v3, v3, 24
	v_mul_hi_u32 v9, v2, 24
	v_mul_lo_u32 v10, v2, 24
	s_waitcnt vmcnt(1)
	v_mov_b32_e32 v2, v7
	v_add_u32_e32 v3, v9, v3
	s_waitcnt vmcnt(0)
	v_add_co_u32_e32 v4, vcc, v4, v10
	v_addc_co_u32_e32 v5, vcc, v5, v3, vcc
	global_store_dwordx2 v[4:5], v[7:8], off
	v_mov_b32_e32 v3, v8
	s_waitcnt vmcnt(0)
	global_atomic_cmpswap_x2 v[2:3], v6, v[0:3], s[6:7] offset:24 glc
	s_waitcnt vmcnt(0)
	v_cmp_ne_u64_e32 vcc, v[2:3], v[7:8]
	s_and_b64 exec, exec, vcc
	s_cbranch_execz .LBB6_988
.LBB6_987:                              ; =>This Inner Loop Header: Depth=1
	s_sleep 1
	global_store_dwordx2 v[4:5], v[2:3], off
	s_waitcnt vmcnt(0)
	global_atomic_cmpswap_x2 v[7:8], v6, v[0:3], s[6:7] offset:24 glc
	s_waitcnt vmcnt(0)
	v_cmp_eq_u64_e32 vcc, v[7:8], v[2:3]
	v_mov_b32_e32 v2, v7
	s_or_b64 s[4:5], vcc, s[4:5]
	v_mov_b32_e32 v3, v8
	s_andn2_b64 exec, exec, s[4:5]
	s_cbranch_execnz .LBB6_987
.LBB6_988:
	s_or_b64 exec, exec, s[20:21]
	v_readfirstlane_b32 s4, v32
	v_mov_b32_e32 v5, 0
	v_mov_b32_e32 v6, 0
	v_cmp_eq_u32_e64 s[4:5], s4, v32
	s_and_saveexec_b64 s[18:19], s[4:5]
	s_cbranch_execz .LBB6_994
; %bb.989:
	v_mov_b32_e32 v0, 0
	global_load_dwordx2 v[3:4], v0, s[6:7] offset:24 glc
	s_waitcnt vmcnt(0)
	buffer_wbinvl1_vol
	global_load_dwordx2 v[1:2], v0, s[6:7] offset:40
	global_load_dwordx2 v[5:6], v0, s[6:7]
	s_waitcnt vmcnt(1)
	v_and_b32_e32 v1, v1, v3
	v_and_b32_e32 v2, v2, v4
	v_mul_lo_u32 v2, v2, 24
	v_mul_hi_u32 v7, v1, 24
	v_mul_lo_u32 v1, v1, 24
	v_add_u32_e32 v2, v7, v2
	s_waitcnt vmcnt(0)
	v_add_co_u32_e32 v1, vcc, v5, v1
	v_addc_co_u32_e32 v2, vcc, v6, v2, vcc
	global_load_dwordx2 v[1:2], v[1:2], off glc
	s_waitcnt vmcnt(0)
	global_atomic_cmpswap_x2 v[5:6], v0, v[1:4], s[6:7] offset:24 glc
	s_waitcnt vmcnt(0)
	buffer_wbinvl1_vol
	v_cmp_ne_u64_e32 vcc, v[5:6], v[3:4]
	s_and_saveexec_b64 s[20:21], vcc
	s_cbranch_execz .LBB6_993
; %bb.990:
	s_mov_b64 s[22:23], 0
.LBB6_991:                              ; =>This Inner Loop Header: Depth=1
	s_sleep 1
	global_load_dwordx2 v[1:2], v0, s[6:7] offset:40
	global_load_dwordx2 v[7:8], v0, s[6:7]
	v_mov_b32_e32 v3, v5
	v_mov_b32_e32 v4, v6
	s_waitcnt vmcnt(1)
	v_and_b32_e32 v1, v1, v3
	s_waitcnt vmcnt(0)
	v_mad_u64_u32 v[5:6], s[24:25], v1, 24, v[7:8]
	v_and_b32_e32 v2, v2, v4
	v_mov_b32_e32 v1, v6
	v_mad_u64_u32 v[1:2], s[24:25], v2, 24, v[1:2]
	v_mov_b32_e32 v6, v1
	global_load_dwordx2 v[1:2], v[5:6], off glc
	s_waitcnt vmcnt(0)
	global_atomic_cmpswap_x2 v[5:6], v0, v[1:4], s[6:7] offset:24 glc
	s_waitcnt vmcnt(0)
	buffer_wbinvl1_vol
	v_cmp_eq_u64_e32 vcc, v[5:6], v[3:4]
	s_or_b64 s[22:23], vcc, s[22:23]
	s_andn2_b64 exec, exec, s[22:23]
	s_cbranch_execnz .LBB6_991
; %bb.992:
	s_or_b64 exec, exec, s[22:23]
.LBB6_993:
	s_or_b64 exec, exec, s[20:21]
.LBB6_994:
	s_or_b64 exec, exec, s[18:19]
	v_mov_b32_e32 v4, 0
	global_load_dwordx2 v[7:8], v4, s[6:7] offset:40
	global_load_dwordx4 v[0:3], v4, s[6:7]
	v_readfirstlane_b32 s18, v5
	v_readfirstlane_b32 s19, v6
	s_mov_b64 s[20:21], exec
	s_waitcnt vmcnt(1)
	v_readfirstlane_b32 s22, v7
	v_readfirstlane_b32 s23, v8
	s_and_b64 s[22:23], s[18:19], s[22:23]
	s_mul_i32 s15, s23, 24
	s_mul_hi_u32 s24, s22, 24
	s_mul_i32 s25, s22, 24
	s_add_i32 s15, s24, s15
	v_mov_b32_e32 v5, s15
	s_waitcnt vmcnt(0)
	v_add_co_u32_e32 v7, vcc, s25, v0
	v_addc_co_u32_e32 v8, vcc, v1, v5, vcc
	s_and_saveexec_b64 s[24:25], s[4:5]
	s_cbranch_execz .LBB6_996
; %bb.995:
	v_mov_b32_e32 v9, s20
	v_mov_b32_e32 v10, s21
	;; [unrolled: 1-line block ×4, first 2 shown]
	global_store_dwordx4 v[7:8], v[9:12], off offset:8
.LBB6_996:
	s_or_b64 exec, exec, s[24:25]
	s_lshl_b64 s[20:21], s[22:23], 12
	v_mov_b32_e32 v5, s21
	v_add_co_u32_e32 v2, vcc, s20, v2
	v_addc_co_u32_e32 v11, vcc, v3, v5, vcc
	s_mov_b32 s20, 0
	v_mov_b32_e32 v3, 33
	v_mov_b32_e32 v5, v4
	;; [unrolled: 1-line block ×3, first 2 shown]
	v_readfirstlane_b32 s24, v2
	v_readfirstlane_b32 s25, v11
	v_add_co_u32_e32 v9, vcc, v2, v31
	s_mov_b32 s21, s20
	s_mov_b32 s22, s20
	;; [unrolled: 1-line block ×3, first 2 shown]
	s_nop 0
	global_store_dwordx4 v31, v[3:6], s[24:25]
	v_mov_b32_e32 v2, s20
	v_addc_co_u32_e32 v10, vcc, 0, v11, vcc
	v_mov_b32_e32 v3, s21
	v_mov_b32_e32 v4, s22
	;; [unrolled: 1-line block ×3, first 2 shown]
	global_store_dwordx4 v31, v[2:5], s[24:25] offset:16
	global_store_dwordx4 v31, v[2:5], s[24:25] offset:32
	;; [unrolled: 1-line block ×3, first 2 shown]
	s_and_saveexec_b64 s[20:21], s[4:5]
	s_cbranch_execz .LBB6_1004
; %bb.997:
	v_mov_b32_e32 v6, 0
	global_load_dwordx2 v[13:14], v6, s[6:7] offset:32 glc
	global_load_dwordx2 v[2:3], v6, s[6:7] offset:40
	v_mov_b32_e32 v11, s18
	v_mov_b32_e32 v12, s19
	s_waitcnt vmcnt(0)
	v_readfirstlane_b32 s22, v2
	v_readfirstlane_b32 s23, v3
	s_and_b64 s[22:23], s[22:23], s[18:19]
	s_mul_i32 s15, s23, 24
	s_mul_hi_u32 s23, s22, 24
	s_mul_i32 s22, s22, 24
	s_add_i32 s15, s23, s15
	v_mov_b32_e32 v2, s15
	v_add_co_u32_e32 v4, vcc, s22, v0
	v_addc_co_u32_e32 v5, vcc, v1, v2, vcc
	global_store_dwordx2 v[4:5], v[13:14], off
	s_waitcnt vmcnt(0)
	global_atomic_cmpswap_x2 v[2:3], v6, v[11:14], s[6:7] offset:32 glc
	s_waitcnt vmcnt(0)
	v_cmp_ne_u64_e32 vcc, v[2:3], v[13:14]
	s_and_saveexec_b64 s[22:23], vcc
	s_cbranch_execz .LBB6_1000
; %bb.998:
	s_mov_b64 s[24:25], 0
.LBB6_999:                              ; =>This Inner Loop Header: Depth=1
	s_sleep 1
	global_store_dwordx2 v[4:5], v[2:3], off
	v_mov_b32_e32 v0, s18
	v_mov_b32_e32 v1, s19
	s_waitcnt vmcnt(0)
	global_atomic_cmpswap_x2 v[0:1], v6, v[0:3], s[6:7] offset:32 glc
	s_waitcnt vmcnt(0)
	v_cmp_eq_u64_e32 vcc, v[0:1], v[2:3]
	v_mov_b32_e32 v3, v1
	s_or_b64 s[24:25], vcc, s[24:25]
	v_mov_b32_e32 v2, v0
	s_andn2_b64 exec, exec, s[24:25]
	s_cbranch_execnz .LBB6_999
.LBB6_1000:
	s_or_b64 exec, exec, s[22:23]
	v_mov_b32_e32 v3, 0
	global_load_dwordx2 v[0:1], v3, s[6:7] offset:16
	s_mov_b64 s[22:23], exec
	v_mbcnt_lo_u32_b32 v2, s22, 0
	v_mbcnt_hi_u32_b32 v2, s23, v2
	v_cmp_eq_u32_e32 vcc, 0, v2
	s_and_saveexec_b64 s[24:25], vcc
	s_cbranch_execz .LBB6_1002
; %bb.1001:
	s_bcnt1_i32_b64 s15, s[22:23]
	v_mov_b32_e32 v2, s15
	s_waitcnt vmcnt(0)
	global_atomic_add_x2 v[0:1], v[2:3], off offset:8
.LBB6_1002:
	s_or_b64 exec, exec, s[24:25]
	s_waitcnt vmcnt(0)
	global_load_dwordx2 v[2:3], v[0:1], off offset:16
	s_waitcnt vmcnt(0)
	v_cmp_eq_u64_e32 vcc, 0, v[2:3]
	s_cbranch_vccnz .LBB6_1004
; %bb.1003:
	global_load_dword v0, v[0:1], off offset:24
	v_mov_b32_e32 v1, 0
	s_waitcnt vmcnt(0)
	global_store_dwordx2 v[2:3], v[0:1], off
	v_and_b32_e32 v0, 0xffffff, v0
	v_readfirstlane_b32 m0, v0
	s_sendmsg sendmsg(MSG_INTERRUPT)
.LBB6_1004:
	s_or_b64 exec, exec, s[20:21]
	s_branch .LBB6_1008
.LBB6_1005:                             ;   in Loop: Header=BB6_1008 Depth=1
	s_or_b64 exec, exec, s[20:21]
	v_readfirstlane_b32 s15, v0
	s_cmp_eq_u32 s15, 0
	s_cbranch_scc1 .LBB6_1007
; %bb.1006:                             ;   in Loop: Header=BB6_1008 Depth=1
	s_sleep 1
	s_cbranch_execnz .LBB6_1008
	s_branch .LBB6_1010
.LBB6_1007:
	s_branch .LBB6_1010
.LBB6_1008:                             ; =>This Inner Loop Header: Depth=1
	v_mov_b32_e32 v0, 1
	s_and_saveexec_b64 s[20:21], s[4:5]
	s_cbranch_execz .LBB6_1005
; %bb.1009:                             ;   in Loop: Header=BB6_1008 Depth=1
	global_load_dword v0, v[7:8], off offset:20 glc
	s_waitcnt vmcnt(0)
	buffer_wbinvl1_vol
	v_and_b32_e32 v0, 1, v0
	s_branch .LBB6_1005
.LBB6_1010:
	global_load_dwordx2 v[0:1], v[9:10], off
	s_and_saveexec_b64 s[20:21], s[4:5]
	s_cbranch_execz .LBB6_1013
; %bb.1011:
	v_mov_b32_e32 v8, 0
	global_load_dwordx2 v[4:5], v8, s[6:7] offset:40
	global_load_dwordx2 v[9:10], v8, s[6:7] offset:24 glc
	global_load_dwordx2 v[6:7], v8, s[6:7]
	v_mov_b32_e32 v3, s19
	s_mov_b64 s[4:5], 0
	s_waitcnt vmcnt(2)
	v_add_co_u32_e32 v11, vcc, 1, v4
	v_addc_co_u32_e32 v12, vcc, 0, v5, vcc
	v_add_co_u32_e32 v2, vcc, s18, v11
	v_addc_co_u32_e32 v3, vcc, v12, v3, vcc
	v_cmp_eq_u64_e32 vcc, 0, v[2:3]
	v_cndmask_b32_e32 v3, v3, v12, vcc
	v_cndmask_b32_e32 v2, v2, v11, vcc
	v_and_b32_e32 v5, v3, v5
	v_and_b32_e32 v4, v2, v4
	v_mul_lo_u32 v5, v5, 24
	v_mul_hi_u32 v11, v4, 24
	v_mul_lo_u32 v12, v4, 24
	s_waitcnt vmcnt(1)
	v_mov_b32_e32 v4, v9
	v_add_u32_e32 v5, v11, v5
	s_waitcnt vmcnt(0)
	v_add_co_u32_e32 v6, vcc, v6, v12
	v_addc_co_u32_e32 v7, vcc, v7, v5, vcc
	global_store_dwordx2 v[6:7], v[9:10], off
	v_mov_b32_e32 v5, v10
	s_waitcnt vmcnt(0)
	global_atomic_cmpswap_x2 v[4:5], v8, v[2:5], s[6:7] offset:24 glc
	s_waitcnt vmcnt(0)
	v_cmp_ne_u64_e32 vcc, v[4:5], v[9:10]
	s_and_b64 exec, exec, vcc
	s_cbranch_execz .LBB6_1013
.LBB6_1012:                             ; =>This Inner Loop Header: Depth=1
	s_sleep 1
	global_store_dwordx2 v[6:7], v[4:5], off
	s_waitcnt vmcnt(0)
	global_atomic_cmpswap_x2 v[9:10], v8, v[2:5], s[6:7] offset:24 glc
	s_waitcnt vmcnt(0)
	v_cmp_eq_u64_e32 vcc, v[9:10], v[4:5]
	v_mov_b32_e32 v4, v9
	s_or_b64 s[4:5], vcc, s[4:5]
	v_mov_b32_e32 v5, v10
	s_andn2_b64 exec, exec, s[4:5]
	s_cbranch_execnz .LBB6_1012
.LBB6_1013:
	s_or_b64 exec, exec, s[20:21]
	s_and_b64 vcc, exec, s[16:17]
	s_cbranch_vccz .LBB6_1098
; %bb.1014:
	s_waitcnt vmcnt(0)
	v_and_b32_e32 v33, 2, v0
	v_mov_b32_e32 v28, 0
	v_and_b32_e32 v2, -3, v0
	v_mov_b32_e32 v3, v1
	s_mov_b64 s[20:21], 3
	v_mov_b32_e32 v6, 2
	v_mov_b32_e32 v7, 1
	s_getpc_b64 s[18:19]
	s_add_u32 s18, s18, .str.6@rel32@lo+4
	s_addc_u32 s19, s19, .str.6@rel32@hi+12
	s_branch .LBB6_1016
.LBB6_1015:                             ;   in Loop: Header=BB6_1016 Depth=1
	s_or_b64 exec, exec, s[26:27]
	s_sub_u32 s20, s20, s22
	s_subb_u32 s21, s21, s23
	s_add_u32 s18, s18, s22
	s_addc_u32 s19, s19, s23
	s_cmp_lg_u64 s[20:21], 0
	s_cbranch_scc0 .LBB6_1097
.LBB6_1016:                             ; =>This Loop Header: Depth=1
                                        ;     Child Loop BB6_1019 Depth 2
                                        ;     Child Loop BB6_1026 Depth 2
	;; [unrolled: 1-line block ×11, first 2 shown]
	v_cmp_lt_u64_e64 s[4:5], s[20:21], 56
	v_cmp_gt_u64_e64 s[24:25], s[20:21], 7
	s_and_b64 s[4:5], s[4:5], exec
	s_cselect_b32 s23, s21, 0
	s_cselect_b32 s22, s20, 56
	s_and_b64 vcc, exec, s[24:25]
	s_cbranch_vccnz .LBB6_1021
; %bb.1017:                             ;   in Loop: Header=BB6_1016 Depth=1
	v_mov_b32_e32 v10, 0
	s_cmp_eq_u64 s[20:21], 0
	v_mov_b32_e32 v11, 0
	s_mov_b64 s[4:5], 0
	s_cbranch_scc1 .LBB6_1020
; %bb.1018:                             ;   in Loop: Header=BB6_1016 Depth=1
	v_mov_b32_e32 v10, 0
	s_lshl_b64 s[24:25], s[22:23], 3
	s_mov_b64 s[26:27], 0
	v_mov_b32_e32 v11, 0
	s_mov_b64 s[28:29], s[18:19]
.LBB6_1019:                             ;   Parent Loop BB6_1016 Depth=1
                                        ; =>  This Inner Loop Header: Depth=2
	global_load_ubyte v4, v28, s[28:29]
	s_waitcnt vmcnt(0)
	v_and_b32_e32 v27, 0xffff, v4
	v_lshlrev_b64 v[4:5], s26, v[27:28]
	s_add_u32 s26, s26, 8
	s_addc_u32 s27, s27, 0
	s_add_u32 s28, s28, 1
	s_addc_u32 s29, s29, 0
	v_or_b32_e32 v10, v4, v10
	s_cmp_lg_u32 s24, s26
	v_or_b32_e32 v11, v5, v11
	s_cbranch_scc1 .LBB6_1019
.LBB6_1020:                             ;   in Loop: Header=BB6_1016 Depth=1
	s_mov_b32 s15, 0
	s_andn2_b64 vcc, exec, s[4:5]
	s_mov_b64 s[4:5], s[18:19]
	s_cbranch_vccz .LBB6_1022
	s_branch .LBB6_1023
.LBB6_1021:                             ;   in Loop: Header=BB6_1016 Depth=1
                                        ; implicit-def: $vgpr10_vgpr11
                                        ; implicit-def: $sgpr15
	s_mov_b64 s[4:5], s[18:19]
.LBB6_1022:                             ;   in Loop: Header=BB6_1016 Depth=1
	global_load_dwordx2 v[10:11], v28, s[18:19]
	s_add_i32 s15, s22, -8
	s_add_u32 s4, s18, 8
	s_addc_u32 s5, s19, 0
.LBB6_1023:                             ;   in Loop: Header=BB6_1016 Depth=1
	s_cmp_gt_u32 s15, 7
	s_cbranch_scc1 .LBB6_1027
; %bb.1024:                             ;   in Loop: Header=BB6_1016 Depth=1
	s_cmp_eq_u32 s15, 0
	s_cbranch_scc1 .LBB6_1028
; %bb.1025:                             ;   in Loop: Header=BB6_1016 Depth=1
	v_mov_b32_e32 v12, 0
	s_mov_b64 s[24:25], 0
	v_mov_b32_e32 v13, 0
	s_mov_b64 s[26:27], 0
.LBB6_1026:                             ;   Parent Loop BB6_1016 Depth=1
                                        ; =>  This Inner Loop Header: Depth=2
	s_add_u32 s28, s4, s26
	s_addc_u32 s29, s5, s27
	global_load_ubyte v4, v28, s[28:29]
	s_add_u32 s26, s26, 1
	s_addc_u32 s27, s27, 0
	s_waitcnt vmcnt(0)
	v_and_b32_e32 v27, 0xffff, v4
	v_lshlrev_b64 v[4:5], s24, v[27:28]
	s_add_u32 s24, s24, 8
	s_addc_u32 s25, s25, 0
	v_or_b32_e32 v12, v4, v12
	s_cmp_lg_u32 s15, s26
	v_or_b32_e32 v13, v5, v13
	s_cbranch_scc1 .LBB6_1026
	s_branch .LBB6_1029
.LBB6_1027:                             ;   in Loop: Header=BB6_1016 Depth=1
                                        ; implicit-def: $vgpr12_vgpr13
                                        ; implicit-def: $sgpr28
	s_branch .LBB6_1030
.LBB6_1028:                             ;   in Loop: Header=BB6_1016 Depth=1
	v_mov_b32_e32 v12, 0
	v_mov_b32_e32 v13, 0
.LBB6_1029:                             ;   in Loop: Header=BB6_1016 Depth=1
	s_mov_b32 s28, 0
	s_cbranch_execnz .LBB6_1031
.LBB6_1030:                             ;   in Loop: Header=BB6_1016 Depth=1
	global_load_dwordx2 v[12:13], v28, s[4:5]
	s_add_i32 s28, s15, -8
	s_add_u32 s4, s4, 8
	s_addc_u32 s5, s5, 0
.LBB6_1031:                             ;   in Loop: Header=BB6_1016 Depth=1
	s_cmp_gt_u32 s28, 7
	s_cbranch_scc1 .LBB6_1035
; %bb.1032:                             ;   in Loop: Header=BB6_1016 Depth=1
	s_cmp_eq_u32 s28, 0
	s_cbranch_scc1 .LBB6_1036
; %bb.1033:                             ;   in Loop: Header=BB6_1016 Depth=1
	v_mov_b32_e32 v14, 0
	s_mov_b64 s[24:25], 0
	v_mov_b32_e32 v15, 0
	s_mov_b64 s[26:27], 0
.LBB6_1034:                             ;   Parent Loop BB6_1016 Depth=1
                                        ; =>  This Inner Loop Header: Depth=2
	s_add_u32 vcc_lo, s4, s26
	s_addc_u32 vcc_hi, s5, s27
	global_load_ubyte v4, v28, vcc
	s_add_u32 s26, s26, 1
	s_addc_u32 s27, s27, 0
	s_waitcnt vmcnt(0)
	v_and_b32_e32 v27, 0xffff, v4
	v_lshlrev_b64 v[4:5], s24, v[27:28]
	s_add_u32 s24, s24, 8
	s_addc_u32 s25, s25, 0
	v_or_b32_e32 v14, v4, v14
	s_cmp_lg_u32 s28, s26
	v_or_b32_e32 v15, v5, v15
	s_cbranch_scc1 .LBB6_1034
	s_branch .LBB6_1037
.LBB6_1035:                             ;   in Loop: Header=BB6_1016 Depth=1
                                        ; implicit-def: $sgpr15
	s_branch .LBB6_1038
.LBB6_1036:                             ;   in Loop: Header=BB6_1016 Depth=1
	v_mov_b32_e32 v14, 0
	v_mov_b32_e32 v15, 0
.LBB6_1037:                             ;   in Loop: Header=BB6_1016 Depth=1
	s_mov_b32 s15, 0
	s_cbranch_execnz .LBB6_1039
.LBB6_1038:                             ;   in Loop: Header=BB6_1016 Depth=1
	global_load_dwordx2 v[14:15], v28, s[4:5]
	s_add_i32 s15, s28, -8
	s_add_u32 s4, s4, 8
	s_addc_u32 s5, s5, 0
.LBB6_1039:                             ;   in Loop: Header=BB6_1016 Depth=1
	s_cmp_gt_u32 s15, 7
	s_cbranch_scc1 .LBB6_1043
; %bb.1040:                             ;   in Loop: Header=BB6_1016 Depth=1
	s_cmp_eq_u32 s15, 0
	s_cbranch_scc1 .LBB6_1044
; %bb.1041:                             ;   in Loop: Header=BB6_1016 Depth=1
	v_mov_b32_e32 v16, 0
	s_mov_b64 s[24:25], 0
	v_mov_b32_e32 v17, 0
	s_mov_b64 s[26:27], 0
.LBB6_1042:                             ;   Parent Loop BB6_1016 Depth=1
                                        ; =>  This Inner Loop Header: Depth=2
	s_add_u32 s28, s4, s26
	s_addc_u32 s29, s5, s27
	global_load_ubyte v4, v28, s[28:29]
	s_add_u32 s26, s26, 1
	s_addc_u32 s27, s27, 0
	s_waitcnt vmcnt(0)
	v_and_b32_e32 v27, 0xffff, v4
	v_lshlrev_b64 v[4:5], s24, v[27:28]
	s_add_u32 s24, s24, 8
	s_addc_u32 s25, s25, 0
	v_or_b32_e32 v16, v4, v16
	s_cmp_lg_u32 s15, s26
	v_or_b32_e32 v17, v5, v17
	s_cbranch_scc1 .LBB6_1042
	s_branch .LBB6_1045
.LBB6_1043:                             ;   in Loop: Header=BB6_1016 Depth=1
                                        ; implicit-def: $vgpr16_vgpr17
                                        ; implicit-def: $sgpr28
	s_branch .LBB6_1046
.LBB6_1044:                             ;   in Loop: Header=BB6_1016 Depth=1
	v_mov_b32_e32 v16, 0
	v_mov_b32_e32 v17, 0
.LBB6_1045:                             ;   in Loop: Header=BB6_1016 Depth=1
	s_mov_b32 s28, 0
	s_cbranch_execnz .LBB6_1047
.LBB6_1046:                             ;   in Loop: Header=BB6_1016 Depth=1
	global_load_dwordx2 v[16:17], v28, s[4:5]
	s_add_i32 s28, s15, -8
	s_add_u32 s4, s4, 8
	s_addc_u32 s5, s5, 0
.LBB6_1047:                             ;   in Loop: Header=BB6_1016 Depth=1
	s_cmp_gt_u32 s28, 7
	s_cbranch_scc1 .LBB6_1051
; %bb.1048:                             ;   in Loop: Header=BB6_1016 Depth=1
	s_cmp_eq_u32 s28, 0
	s_cbranch_scc1 .LBB6_1052
; %bb.1049:                             ;   in Loop: Header=BB6_1016 Depth=1
	v_mov_b32_e32 v18, 0
	s_mov_b64 s[24:25], 0
	v_mov_b32_e32 v19, 0
	s_mov_b64 s[26:27], 0
.LBB6_1050:                             ;   Parent Loop BB6_1016 Depth=1
                                        ; =>  This Inner Loop Header: Depth=2
	s_add_u32 vcc_lo, s4, s26
	s_addc_u32 vcc_hi, s5, s27
	global_load_ubyte v4, v28, vcc
	s_add_u32 s26, s26, 1
	s_addc_u32 s27, s27, 0
	s_waitcnt vmcnt(0)
	v_and_b32_e32 v27, 0xffff, v4
	v_lshlrev_b64 v[4:5], s24, v[27:28]
	s_add_u32 s24, s24, 8
	s_addc_u32 s25, s25, 0
	v_or_b32_e32 v18, v4, v18
	s_cmp_lg_u32 s28, s26
	v_or_b32_e32 v19, v5, v19
	s_cbranch_scc1 .LBB6_1050
	s_branch .LBB6_1053
.LBB6_1051:                             ;   in Loop: Header=BB6_1016 Depth=1
                                        ; implicit-def: $sgpr15
	s_branch .LBB6_1054
.LBB6_1052:                             ;   in Loop: Header=BB6_1016 Depth=1
	v_mov_b32_e32 v18, 0
	v_mov_b32_e32 v19, 0
.LBB6_1053:                             ;   in Loop: Header=BB6_1016 Depth=1
	s_mov_b32 s15, 0
	s_cbranch_execnz .LBB6_1055
.LBB6_1054:                             ;   in Loop: Header=BB6_1016 Depth=1
	global_load_dwordx2 v[18:19], v28, s[4:5]
	s_add_i32 s15, s28, -8
	s_add_u32 s4, s4, 8
	s_addc_u32 s5, s5, 0
.LBB6_1055:                             ;   in Loop: Header=BB6_1016 Depth=1
	s_cmp_gt_u32 s15, 7
	s_cbranch_scc1 .LBB6_1059
; %bb.1056:                             ;   in Loop: Header=BB6_1016 Depth=1
	s_cmp_eq_u32 s15, 0
	s_cbranch_scc1 .LBB6_1060
; %bb.1057:                             ;   in Loop: Header=BB6_1016 Depth=1
	v_mov_b32_e32 v20, 0
	s_mov_b64 s[24:25], 0
	v_mov_b32_e32 v21, 0
	s_mov_b64 s[26:27], 0
.LBB6_1058:                             ;   Parent Loop BB6_1016 Depth=1
                                        ; =>  This Inner Loop Header: Depth=2
	s_add_u32 s28, s4, s26
	s_addc_u32 s29, s5, s27
	global_load_ubyte v4, v28, s[28:29]
	s_add_u32 s26, s26, 1
	s_addc_u32 s27, s27, 0
	s_waitcnt vmcnt(0)
	v_and_b32_e32 v27, 0xffff, v4
	v_lshlrev_b64 v[4:5], s24, v[27:28]
	s_add_u32 s24, s24, 8
	s_addc_u32 s25, s25, 0
	v_or_b32_e32 v20, v4, v20
	s_cmp_lg_u32 s15, s26
	v_or_b32_e32 v21, v5, v21
	s_cbranch_scc1 .LBB6_1058
	s_branch .LBB6_1061
.LBB6_1059:                             ;   in Loop: Header=BB6_1016 Depth=1
                                        ; implicit-def: $vgpr20_vgpr21
                                        ; implicit-def: $sgpr28
	s_branch .LBB6_1062
.LBB6_1060:                             ;   in Loop: Header=BB6_1016 Depth=1
	v_mov_b32_e32 v20, 0
	v_mov_b32_e32 v21, 0
.LBB6_1061:                             ;   in Loop: Header=BB6_1016 Depth=1
	s_mov_b32 s28, 0
	s_cbranch_execnz .LBB6_1063
.LBB6_1062:                             ;   in Loop: Header=BB6_1016 Depth=1
	global_load_dwordx2 v[20:21], v28, s[4:5]
	s_add_i32 s28, s15, -8
	s_add_u32 s4, s4, 8
	s_addc_u32 s5, s5, 0
.LBB6_1063:                             ;   in Loop: Header=BB6_1016 Depth=1
	s_cmp_gt_u32 s28, 7
	s_cbranch_scc1 .LBB6_1067
; %bb.1064:                             ;   in Loop: Header=BB6_1016 Depth=1
	s_cmp_eq_u32 s28, 0
	s_cbranch_scc1 .LBB6_1068
; %bb.1065:                             ;   in Loop: Header=BB6_1016 Depth=1
	v_mov_b32_e32 v22, 0
	s_mov_b64 s[24:25], 0
	v_mov_b32_e32 v23, 0
	s_mov_b64 s[26:27], s[4:5]
.LBB6_1066:                             ;   Parent Loop BB6_1016 Depth=1
                                        ; =>  This Inner Loop Header: Depth=2
	global_load_ubyte v4, v28, s[26:27]
	s_add_i32 s28, s28, -1
	s_waitcnt vmcnt(0)
	v_and_b32_e32 v27, 0xffff, v4
	v_lshlrev_b64 v[4:5], s24, v[27:28]
	s_add_u32 s24, s24, 8
	s_addc_u32 s25, s25, 0
	s_add_u32 s26, s26, 1
	s_addc_u32 s27, s27, 0
	v_or_b32_e32 v22, v4, v22
	s_cmp_lg_u32 s28, 0
	v_or_b32_e32 v23, v5, v23
	s_cbranch_scc1 .LBB6_1066
	s_branch .LBB6_1069
.LBB6_1067:                             ;   in Loop: Header=BB6_1016 Depth=1
	s_branch .LBB6_1070
.LBB6_1068:                             ;   in Loop: Header=BB6_1016 Depth=1
	v_mov_b32_e32 v22, 0
	v_mov_b32_e32 v23, 0
.LBB6_1069:                             ;   in Loop: Header=BB6_1016 Depth=1
	s_cbranch_execnz .LBB6_1071
.LBB6_1070:                             ;   in Loop: Header=BB6_1016 Depth=1
	global_load_dwordx2 v[22:23], v28, s[4:5]
.LBB6_1071:                             ;   in Loop: Header=BB6_1016 Depth=1
	v_readfirstlane_b32 s4, v32
	s_waitcnt vmcnt(0)
	v_mov_b32_e32 v4, 0
	v_mov_b32_e32 v5, 0
	v_cmp_eq_u32_e64 s[4:5], s4, v32
	s_and_saveexec_b64 s[24:25], s[4:5]
	s_cbranch_execz .LBB6_1077
; %bb.1072:                             ;   in Loop: Header=BB6_1016 Depth=1
	global_load_dwordx2 v[26:27], v28, s[6:7] offset:24 glc
	s_waitcnt vmcnt(0)
	buffer_wbinvl1_vol
	global_load_dwordx2 v[4:5], v28, s[6:7] offset:40
	global_load_dwordx2 v[8:9], v28, s[6:7]
	s_waitcnt vmcnt(1)
	v_and_b32_e32 v4, v4, v26
	v_and_b32_e32 v5, v5, v27
	v_mul_lo_u32 v5, v5, 24
	v_mul_hi_u32 v24, v4, 24
	v_mul_lo_u32 v4, v4, 24
	v_add_u32_e32 v5, v24, v5
	s_waitcnt vmcnt(0)
	v_add_co_u32_e32 v4, vcc, v8, v4
	v_addc_co_u32_e32 v5, vcc, v9, v5, vcc
	global_load_dwordx2 v[24:25], v[4:5], off glc
	s_waitcnt vmcnt(0)
	global_atomic_cmpswap_x2 v[4:5], v28, v[24:27], s[6:7] offset:24 glc
	s_waitcnt vmcnt(0)
	buffer_wbinvl1_vol
	v_cmp_ne_u64_e32 vcc, v[4:5], v[26:27]
	s_and_saveexec_b64 s[26:27], vcc
	s_cbranch_execz .LBB6_1076
; %bb.1073:                             ;   in Loop: Header=BB6_1016 Depth=1
	s_mov_b64 s[28:29], 0
.LBB6_1074:                             ;   Parent Loop BB6_1016 Depth=1
                                        ; =>  This Inner Loop Header: Depth=2
	s_sleep 1
	global_load_dwordx2 v[8:9], v28, s[6:7] offset:40
	global_load_dwordx2 v[24:25], v28, s[6:7]
	v_mov_b32_e32 v27, v5
	v_mov_b32_e32 v26, v4
	s_waitcnt vmcnt(1)
	v_and_b32_e32 v4, v8, v26
	s_waitcnt vmcnt(0)
	v_mad_u64_u32 v[4:5], vcc, v4, 24, v[24:25]
	v_and_b32_e32 v8, v9, v27
	v_mad_u64_u32 v[8:9], vcc, v8, 24, v[5:6]
	v_mov_b32_e32 v5, v8
	global_load_dwordx2 v[24:25], v[4:5], off glc
	s_waitcnt vmcnt(0)
	global_atomic_cmpswap_x2 v[4:5], v28, v[24:27], s[6:7] offset:24 glc
	s_waitcnt vmcnt(0)
	buffer_wbinvl1_vol
	v_cmp_eq_u64_e32 vcc, v[4:5], v[26:27]
	s_or_b64 s[28:29], vcc, s[28:29]
	s_andn2_b64 exec, exec, s[28:29]
	s_cbranch_execnz .LBB6_1074
; %bb.1075:                             ;   in Loop: Header=BB6_1016 Depth=1
	s_or_b64 exec, exec, s[28:29]
.LBB6_1076:                             ;   in Loop: Header=BB6_1016 Depth=1
	s_or_b64 exec, exec, s[26:27]
.LBB6_1077:                             ;   in Loop: Header=BB6_1016 Depth=1
	s_or_b64 exec, exec, s[24:25]
	global_load_dwordx2 v[8:9], v28, s[6:7] offset:40
	global_load_dwordx4 v[24:27], v28, s[6:7]
	v_readfirstlane_b32 s24, v4
	v_readfirstlane_b32 s25, v5
	s_mov_b64 s[26:27], exec
	s_waitcnt vmcnt(1)
	v_readfirstlane_b32 s28, v8
	v_readfirstlane_b32 s29, v9
	s_and_b64 s[28:29], s[24:25], s[28:29]
	s_mul_i32 s15, s29, 24
	s_mul_hi_u32 vcc_lo, s28, 24
	s_mul_i32 vcc_hi, s28, 24
	s_add_i32 s15, vcc_lo, s15
	v_mov_b32_e32 v4, s15
	s_waitcnt vmcnt(0)
	v_add_co_u32_e32 v29, vcc, vcc_hi, v24
	v_addc_co_u32_e32 v30, vcc, v25, v4, vcc
	s_and_saveexec_b64 vcc, s[4:5]
	s_cbranch_execz .LBB6_1079
; %bb.1078:                             ;   in Loop: Header=BB6_1016 Depth=1
	v_mov_b32_e32 v4, s26
	v_mov_b32_e32 v5, s27
	global_store_dwordx4 v[29:30], v[4:7], off offset:8
.LBB6_1079:                             ;   in Loop: Header=BB6_1016 Depth=1
	s_or_b64 exec, exec, vcc
	s_lshl_b64 s[26:27], s[28:29], 12
	v_mov_b32_e32 v4, s27
	v_add_co_u32_e32 v26, vcc, s26, v26
	v_addc_co_u32_e32 v34, vcc, v27, v4, vcc
	v_cmp_gt_u64_e64 vcc, s[20:21], 56
	v_or_b32_e32 v5, v2, v33
	s_lshl_b32 s15, s22, 2
	v_cndmask_b32_e32 v2, v5, v2, vcc
	s_add_i32 s15, s15, 28
	v_or_b32_e32 v4, 0, v3
	s_and_b32 s15, s15, 0x1e0
	v_and_b32_e32 v2, 0xffffff1f, v2
	v_cndmask_b32_e32 v9, v4, v3, vcc
	v_or_b32_e32 v8, s15, v2
	v_readfirstlane_b32 s26, v26
	v_readfirstlane_b32 s27, v34
	s_nop 4
	global_store_dwordx4 v31, v[8:11], s[26:27]
	global_store_dwordx4 v31, v[12:15], s[26:27] offset:16
	global_store_dwordx4 v31, v[16:19], s[26:27] offset:32
	;; [unrolled: 1-line block ×3, first 2 shown]
	s_and_saveexec_b64 s[26:27], s[4:5]
	s_cbranch_execz .LBB6_1087
; %bb.1080:                             ;   in Loop: Header=BB6_1016 Depth=1
	global_load_dwordx2 v[12:13], v28, s[6:7] offset:32 glc
	global_load_dwordx2 v[2:3], v28, s[6:7] offset:40
	v_mov_b32_e32 v10, s24
	v_mov_b32_e32 v11, s25
	s_waitcnt vmcnt(0)
	v_readfirstlane_b32 s28, v2
	v_readfirstlane_b32 s29, v3
	s_and_b64 s[28:29], s[28:29], s[24:25]
	s_mul_i32 s15, s29, 24
	s_mul_hi_u32 s29, s28, 24
	s_mul_i32 s28, s28, 24
	s_add_i32 s15, s29, s15
	v_mov_b32_e32 v2, s15
	v_add_co_u32_e32 v8, vcc, s28, v24
	v_addc_co_u32_e32 v9, vcc, v25, v2, vcc
	global_store_dwordx2 v[8:9], v[12:13], off
	s_waitcnt vmcnt(0)
	global_atomic_cmpswap_x2 v[4:5], v28, v[10:13], s[6:7] offset:32 glc
	s_waitcnt vmcnt(0)
	v_cmp_ne_u64_e32 vcc, v[4:5], v[12:13]
	s_and_saveexec_b64 s[28:29], vcc
	s_cbranch_execz .LBB6_1083
; %bb.1081:                             ;   in Loop: Header=BB6_1016 Depth=1
	s_mov_b64 s[30:31], 0
.LBB6_1082:                             ;   Parent Loop BB6_1016 Depth=1
                                        ; =>  This Inner Loop Header: Depth=2
	s_sleep 1
	global_store_dwordx2 v[8:9], v[4:5], off
	v_mov_b32_e32 v2, s24
	v_mov_b32_e32 v3, s25
	s_waitcnt vmcnt(0)
	global_atomic_cmpswap_x2 v[2:3], v28, v[2:5], s[6:7] offset:32 glc
	s_waitcnt vmcnt(0)
	v_cmp_eq_u64_e32 vcc, v[2:3], v[4:5]
	v_mov_b32_e32 v5, v3
	s_or_b64 s[30:31], vcc, s[30:31]
	v_mov_b32_e32 v4, v2
	s_andn2_b64 exec, exec, s[30:31]
	s_cbranch_execnz .LBB6_1082
.LBB6_1083:                             ;   in Loop: Header=BB6_1016 Depth=1
	s_or_b64 exec, exec, s[28:29]
	global_load_dwordx2 v[2:3], v28, s[6:7] offset:16
	s_mov_b64 s[30:31], exec
	v_mbcnt_lo_u32_b32 v4, s30, 0
	v_mbcnt_hi_u32_b32 v4, s31, v4
	v_cmp_eq_u32_e32 vcc, 0, v4
	s_and_saveexec_b64 s[28:29], vcc
	s_cbranch_execz .LBB6_1085
; %bb.1084:                             ;   in Loop: Header=BB6_1016 Depth=1
	s_bcnt1_i32_b64 s15, s[30:31]
	v_mov_b32_e32 v27, s15
	s_waitcnt vmcnt(0)
	global_atomic_add_x2 v[2:3], v[27:28], off offset:8
.LBB6_1085:                             ;   in Loop: Header=BB6_1016 Depth=1
	s_or_b64 exec, exec, s[28:29]
	s_waitcnt vmcnt(0)
	global_load_dwordx2 v[4:5], v[2:3], off offset:16
	s_waitcnt vmcnt(0)
	v_cmp_eq_u64_e32 vcc, 0, v[4:5]
	s_cbranch_vccnz .LBB6_1087
; %bb.1086:                             ;   in Loop: Header=BB6_1016 Depth=1
	global_load_dword v27, v[2:3], off offset:24
	s_waitcnt vmcnt(0)
	v_and_b32_e32 v2, 0xffffff, v27
	v_readfirstlane_b32 m0, v2
	global_store_dwordx2 v[4:5], v[27:28], off
	s_sendmsg sendmsg(MSG_INTERRUPT)
.LBB6_1087:                             ;   in Loop: Header=BB6_1016 Depth=1
	s_or_b64 exec, exec, s[26:27]
	v_add_co_u32_e32 v2, vcc, v26, v31
	v_addc_co_u32_e32 v3, vcc, 0, v34, vcc
	s_branch .LBB6_1091
.LBB6_1088:                             ;   in Loop: Header=BB6_1091 Depth=2
	s_or_b64 exec, exec, s[26:27]
	v_readfirstlane_b32 s15, v4
	s_cmp_eq_u32 s15, 0
	s_cbranch_scc1 .LBB6_1090
; %bb.1089:                             ;   in Loop: Header=BB6_1091 Depth=2
	s_sleep 1
	s_cbranch_execnz .LBB6_1091
	s_branch .LBB6_1093
.LBB6_1090:                             ;   in Loop: Header=BB6_1016 Depth=1
	s_branch .LBB6_1093
.LBB6_1091:                             ;   Parent Loop BB6_1016 Depth=1
                                        ; =>  This Inner Loop Header: Depth=2
	v_mov_b32_e32 v4, 1
	s_and_saveexec_b64 s[26:27], s[4:5]
	s_cbranch_execz .LBB6_1088
; %bb.1092:                             ;   in Loop: Header=BB6_1091 Depth=2
	global_load_dword v4, v[29:30], off offset:20 glc
	s_waitcnt vmcnt(0)
	buffer_wbinvl1_vol
	v_and_b32_e32 v4, 1, v4
	s_branch .LBB6_1088
.LBB6_1093:                             ;   in Loop: Header=BB6_1016 Depth=1
	global_load_dwordx4 v[2:5], v[2:3], off
	s_and_saveexec_b64 s[26:27], s[4:5]
	s_cbranch_execz .LBB6_1015
; %bb.1094:                             ;   in Loop: Header=BB6_1016 Depth=1
	global_load_dwordx2 v[4:5], v28, s[6:7] offset:40
	global_load_dwordx2 v[12:13], v28, s[6:7] offset:24 glc
	global_load_dwordx2 v[14:15], v28, s[6:7]
	v_mov_b32_e32 v9, s25
	s_waitcnt vmcnt(2)
	v_add_co_u32_e32 v10, vcc, 1, v4
	v_addc_co_u32_e32 v11, vcc, 0, v5, vcc
	v_add_co_u32_e32 v8, vcc, s24, v10
	v_addc_co_u32_e32 v9, vcc, v11, v9, vcc
	v_cmp_eq_u64_e32 vcc, 0, v[8:9]
	v_cndmask_b32_e32 v9, v9, v11, vcc
	v_cndmask_b32_e32 v8, v8, v10, vcc
	v_and_b32_e32 v5, v9, v5
	v_and_b32_e32 v4, v8, v4
	v_mul_lo_u32 v5, v5, 24
	v_mul_hi_u32 v11, v4, 24
	v_mul_lo_u32 v4, v4, 24
	s_waitcnt vmcnt(1)
	v_mov_b32_e32 v10, v12
	v_add_u32_e32 v5, v11, v5
	s_waitcnt vmcnt(0)
	v_add_co_u32_e32 v4, vcc, v14, v4
	v_addc_co_u32_e32 v5, vcc, v15, v5, vcc
	global_store_dwordx2 v[4:5], v[12:13], off
	v_mov_b32_e32 v11, v13
	s_waitcnt vmcnt(0)
	global_atomic_cmpswap_x2 v[10:11], v28, v[8:11], s[6:7] offset:24 glc
	s_waitcnt vmcnt(0)
	v_cmp_ne_u64_e32 vcc, v[10:11], v[12:13]
	s_and_b64 exec, exec, vcc
	s_cbranch_execz .LBB6_1015
; %bb.1095:                             ;   in Loop: Header=BB6_1016 Depth=1
	s_mov_b64 s[4:5], 0
.LBB6_1096:                             ;   Parent Loop BB6_1016 Depth=1
                                        ; =>  This Inner Loop Header: Depth=2
	s_sleep 1
	global_store_dwordx2 v[4:5], v[10:11], off
	s_waitcnt vmcnt(0)
	global_atomic_cmpswap_x2 v[12:13], v28, v[8:11], s[6:7] offset:24 glc
	s_waitcnt vmcnt(0)
	v_cmp_eq_u64_e32 vcc, v[12:13], v[10:11]
	v_mov_b32_e32 v10, v12
	s_or_b64 s[4:5], vcc, s[4:5]
	v_mov_b32_e32 v11, v13
	s_andn2_b64 exec, exec, s[4:5]
	s_cbranch_execnz .LBB6_1096
	s_branch .LBB6_1015
.LBB6_1097:
	s_branch .LBB6_1125
.LBB6_1098:
                                        ; implicit-def: $vgpr2_vgpr3
	s_cbranch_execz .LBB6_1125
; %bb.1099:
	v_readfirstlane_b32 s4, v32
	v_mov_b32_e32 v8, 0
	v_mov_b32_e32 v9, 0
	v_cmp_eq_u32_e64 s[4:5], s4, v32
	s_and_saveexec_b64 s[18:19], s[4:5]
	s_cbranch_execz .LBB6_1105
; %bb.1100:
	s_waitcnt vmcnt(0)
	v_mov_b32_e32 v2, 0
	global_load_dwordx2 v[5:6], v2, s[6:7] offset:24 glc
	s_waitcnt vmcnt(0)
	buffer_wbinvl1_vol
	global_load_dwordx2 v[3:4], v2, s[6:7] offset:40
	global_load_dwordx2 v[7:8], v2, s[6:7]
	s_waitcnt vmcnt(1)
	v_and_b32_e32 v3, v3, v5
	v_and_b32_e32 v4, v4, v6
	v_mul_lo_u32 v4, v4, 24
	v_mul_hi_u32 v9, v3, 24
	v_mul_lo_u32 v3, v3, 24
	v_add_u32_e32 v4, v9, v4
	s_waitcnt vmcnt(0)
	v_add_co_u32_e32 v3, vcc, v7, v3
	v_addc_co_u32_e32 v4, vcc, v8, v4, vcc
	global_load_dwordx2 v[3:4], v[3:4], off glc
	s_waitcnt vmcnt(0)
	global_atomic_cmpswap_x2 v[8:9], v2, v[3:6], s[6:7] offset:24 glc
	s_waitcnt vmcnt(0)
	buffer_wbinvl1_vol
	v_cmp_ne_u64_e32 vcc, v[8:9], v[5:6]
	s_and_saveexec_b64 s[20:21], vcc
	s_cbranch_execz .LBB6_1104
; %bb.1101:
	s_mov_b64 s[22:23], 0
.LBB6_1102:                             ; =>This Inner Loop Header: Depth=1
	s_sleep 1
	global_load_dwordx2 v[3:4], v2, s[6:7] offset:40
	global_load_dwordx2 v[10:11], v2, s[6:7]
	v_mov_b32_e32 v5, v8
	v_mov_b32_e32 v6, v9
	s_waitcnt vmcnt(1)
	v_and_b32_e32 v3, v3, v5
	s_waitcnt vmcnt(0)
	v_mad_u64_u32 v[7:8], s[24:25], v3, 24, v[10:11]
	v_and_b32_e32 v4, v4, v6
	v_mov_b32_e32 v3, v8
	v_mad_u64_u32 v[3:4], s[24:25], v4, 24, v[3:4]
	v_mov_b32_e32 v8, v3
	global_load_dwordx2 v[3:4], v[7:8], off glc
	s_waitcnt vmcnt(0)
	global_atomic_cmpswap_x2 v[8:9], v2, v[3:6], s[6:7] offset:24 glc
	s_waitcnt vmcnt(0)
	buffer_wbinvl1_vol
	v_cmp_eq_u64_e32 vcc, v[8:9], v[5:6]
	s_or_b64 s[22:23], vcc, s[22:23]
	s_andn2_b64 exec, exec, s[22:23]
	s_cbranch_execnz .LBB6_1102
; %bb.1103:
	s_or_b64 exec, exec, s[22:23]
.LBB6_1104:
	s_or_b64 exec, exec, s[20:21]
.LBB6_1105:
	s_or_b64 exec, exec, s[18:19]
	s_waitcnt vmcnt(0)
	v_mov_b32_e32 v2, 0
	global_load_dwordx2 v[10:11], v2, s[6:7] offset:40
	global_load_dwordx4 v[4:7], v2, s[6:7]
	v_readfirstlane_b32 s18, v8
	v_readfirstlane_b32 s19, v9
	s_mov_b64 s[20:21], exec
	s_waitcnt vmcnt(1)
	v_readfirstlane_b32 s22, v10
	v_readfirstlane_b32 s23, v11
	s_and_b64 s[22:23], s[18:19], s[22:23]
	s_mul_i32 s15, s23, 24
	s_mul_hi_u32 s24, s22, 24
	s_mul_i32 s25, s22, 24
	s_add_i32 s15, s24, s15
	v_mov_b32_e32 v3, s15
	s_waitcnt vmcnt(0)
	v_add_co_u32_e32 v8, vcc, s25, v4
	v_addc_co_u32_e32 v9, vcc, v5, v3, vcc
	s_and_saveexec_b64 s[24:25], s[4:5]
	s_cbranch_execz .LBB6_1107
; %bb.1106:
	v_mov_b32_e32 v10, s20
	v_mov_b32_e32 v11, s21
	;; [unrolled: 1-line block ×4, first 2 shown]
	global_store_dwordx4 v[8:9], v[10:13], off offset:8
.LBB6_1107:
	s_or_b64 exec, exec, s[24:25]
	s_lshl_b64 s[20:21], s[22:23], 12
	v_mov_b32_e32 v3, s21
	v_add_co_u32_e32 v10, vcc, s20, v6
	v_addc_co_u32_e32 v11, vcc, v7, v3, vcc
	s_movk_i32 s15, 0xff1f
	v_and_or_b32 v0, v0, s15, 32
	s_mov_b32 s20, 0
	v_mov_b32_e32 v3, v2
	v_readfirstlane_b32 s24, v10
	v_readfirstlane_b32 s25, v11
	v_add_co_u32_e32 v6, vcc, v10, v31
	s_mov_b32 s21, s20
	s_mov_b32 s22, s20
	;; [unrolled: 1-line block ×3, first 2 shown]
	s_nop 0
	global_store_dwordx4 v31, v[0:3], s[24:25]
	v_addc_co_u32_e32 v7, vcc, 0, v11, vcc
	v_mov_b32_e32 v0, s20
	v_mov_b32_e32 v1, s21
	v_mov_b32_e32 v2, s22
	v_mov_b32_e32 v3, s23
	global_store_dwordx4 v31, v[0:3], s[24:25] offset:16
	global_store_dwordx4 v31, v[0:3], s[24:25] offset:32
	;; [unrolled: 1-line block ×3, first 2 shown]
	s_and_saveexec_b64 s[20:21], s[4:5]
	s_cbranch_execz .LBB6_1115
; %bb.1108:
	v_mov_b32_e32 v10, 0
	global_load_dwordx2 v[13:14], v10, s[6:7] offset:32 glc
	global_load_dwordx2 v[0:1], v10, s[6:7] offset:40
	v_mov_b32_e32 v11, s18
	v_mov_b32_e32 v12, s19
	s_waitcnt vmcnt(0)
	v_readfirstlane_b32 s22, v0
	v_readfirstlane_b32 s23, v1
	s_and_b64 s[22:23], s[22:23], s[18:19]
	s_mul_i32 s15, s23, 24
	s_mul_hi_u32 s23, s22, 24
	s_mul_i32 s22, s22, 24
	s_add_i32 s15, s23, s15
	v_mov_b32_e32 v0, s15
	v_add_co_u32_e32 v4, vcc, s22, v4
	v_addc_co_u32_e32 v5, vcc, v5, v0, vcc
	global_store_dwordx2 v[4:5], v[13:14], off
	s_waitcnt vmcnt(0)
	global_atomic_cmpswap_x2 v[2:3], v10, v[11:14], s[6:7] offset:32 glc
	s_waitcnt vmcnt(0)
	v_cmp_ne_u64_e32 vcc, v[2:3], v[13:14]
	s_and_saveexec_b64 s[22:23], vcc
	s_cbranch_execz .LBB6_1111
; %bb.1109:
	s_mov_b64 s[24:25], 0
.LBB6_1110:                             ; =>This Inner Loop Header: Depth=1
	s_sleep 1
	global_store_dwordx2 v[4:5], v[2:3], off
	v_mov_b32_e32 v0, s18
	v_mov_b32_e32 v1, s19
	s_waitcnt vmcnt(0)
	global_atomic_cmpswap_x2 v[0:1], v10, v[0:3], s[6:7] offset:32 glc
	s_waitcnt vmcnt(0)
	v_cmp_eq_u64_e32 vcc, v[0:1], v[2:3]
	v_mov_b32_e32 v3, v1
	s_or_b64 s[24:25], vcc, s[24:25]
	v_mov_b32_e32 v2, v0
	s_andn2_b64 exec, exec, s[24:25]
	s_cbranch_execnz .LBB6_1110
.LBB6_1111:
	s_or_b64 exec, exec, s[22:23]
	v_mov_b32_e32 v3, 0
	global_load_dwordx2 v[0:1], v3, s[6:7] offset:16
	s_mov_b64 s[22:23], exec
	v_mbcnt_lo_u32_b32 v2, s22, 0
	v_mbcnt_hi_u32_b32 v2, s23, v2
	v_cmp_eq_u32_e32 vcc, 0, v2
	s_and_saveexec_b64 s[24:25], vcc
	s_cbranch_execz .LBB6_1113
; %bb.1112:
	s_bcnt1_i32_b64 s15, s[22:23]
	v_mov_b32_e32 v2, s15
	s_waitcnt vmcnt(0)
	global_atomic_add_x2 v[0:1], v[2:3], off offset:8
.LBB6_1113:
	s_or_b64 exec, exec, s[24:25]
	s_waitcnt vmcnt(0)
	global_load_dwordx2 v[2:3], v[0:1], off offset:16
	s_waitcnt vmcnt(0)
	v_cmp_eq_u64_e32 vcc, 0, v[2:3]
	s_cbranch_vccnz .LBB6_1115
; %bb.1114:
	global_load_dword v0, v[0:1], off offset:24
	v_mov_b32_e32 v1, 0
	s_waitcnt vmcnt(0)
	global_store_dwordx2 v[2:3], v[0:1], off
	v_and_b32_e32 v0, 0xffffff, v0
	v_readfirstlane_b32 m0, v0
	s_sendmsg sendmsg(MSG_INTERRUPT)
.LBB6_1115:
	s_or_b64 exec, exec, s[20:21]
	s_branch .LBB6_1119
.LBB6_1116:                             ;   in Loop: Header=BB6_1119 Depth=1
	s_or_b64 exec, exec, s[20:21]
	v_readfirstlane_b32 s15, v0
	s_cmp_eq_u32 s15, 0
	s_cbranch_scc1 .LBB6_1118
; %bb.1117:                             ;   in Loop: Header=BB6_1119 Depth=1
	s_sleep 1
	s_cbranch_execnz .LBB6_1119
	s_branch .LBB6_1121
.LBB6_1118:
	s_branch .LBB6_1121
.LBB6_1119:                             ; =>This Inner Loop Header: Depth=1
	v_mov_b32_e32 v0, 1
	s_and_saveexec_b64 s[20:21], s[4:5]
	s_cbranch_execz .LBB6_1116
; %bb.1120:                             ;   in Loop: Header=BB6_1119 Depth=1
	global_load_dword v0, v[8:9], off offset:20 glc
	s_waitcnt vmcnt(0)
	buffer_wbinvl1_vol
	v_and_b32_e32 v0, 1, v0
	s_branch .LBB6_1116
.LBB6_1121:
	global_load_dwordx2 v[2:3], v[6:7], off
	s_and_saveexec_b64 s[20:21], s[4:5]
	s_cbranch_execz .LBB6_1124
; %bb.1122:
	v_mov_b32_e32 v8, 0
	global_load_dwordx2 v[0:1], v8, s[6:7] offset:40
	global_load_dwordx2 v[9:10], v8, s[6:7] offset:24 glc
	global_load_dwordx2 v[11:12], v8, s[6:7]
	v_mov_b32_e32 v5, s19
	s_mov_b64 s[4:5], 0
	s_waitcnt vmcnt(2)
	v_add_co_u32_e32 v6, vcc, 1, v0
	v_addc_co_u32_e32 v7, vcc, 0, v1, vcc
	v_add_co_u32_e32 v4, vcc, s18, v6
	v_addc_co_u32_e32 v5, vcc, v7, v5, vcc
	v_cmp_eq_u64_e32 vcc, 0, v[4:5]
	v_cndmask_b32_e32 v5, v5, v7, vcc
	v_cndmask_b32_e32 v4, v4, v6, vcc
	v_and_b32_e32 v1, v5, v1
	v_and_b32_e32 v0, v4, v0
	v_mul_lo_u32 v1, v1, 24
	v_mul_hi_u32 v7, v0, 24
	v_mul_lo_u32 v0, v0, 24
	s_waitcnt vmcnt(1)
	v_mov_b32_e32 v6, v9
	v_add_u32_e32 v1, v7, v1
	s_waitcnt vmcnt(0)
	v_add_co_u32_e32 v0, vcc, v11, v0
	v_addc_co_u32_e32 v1, vcc, v12, v1, vcc
	global_store_dwordx2 v[0:1], v[9:10], off
	v_mov_b32_e32 v7, v10
	s_waitcnt vmcnt(0)
	global_atomic_cmpswap_x2 v[6:7], v8, v[4:7], s[6:7] offset:24 glc
	s_waitcnt vmcnt(0)
	v_cmp_ne_u64_e32 vcc, v[6:7], v[9:10]
	s_and_b64 exec, exec, vcc
	s_cbranch_execz .LBB6_1124
.LBB6_1123:                             ; =>This Inner Loop Header: Depth=1
	s_sleep 1
	global_store_dwordx2 v[0:1], v[6:7], off
	s_waitcnt vmcnt(0)
	global_atomic_cmpswap_x2 v[9:10], v8, v[4:7], s[6:7] offset:24 glc
	s_waitcnt vmcnt(0)
	v_cmp_eq_u64_e32 vcc, v[9:10], v[6:7]
	v_mov_b32_e32 v6, v9
	s_or_b64 s[4:5], vcc, s[4:5]
	v_mov_b32_e32 v7, v10
	s_andn2_b64 exec, exec, s[4:5]
	s_cbranch_execnz .LBB6_1123
.LBB6_1124:
	s_or_b64 exec, exec, s[20:21]
.LBB6_1125:
	v_readfirstlane_b32 s4, v32
	s_waitcnt vmcnt(0)
	v_mov_b32_e32 v0, 0
	v_mov_b32_e32 v1, 0
	v_cmp_eq_u32_e64 s[4:5], s4, v32
	s_and_saveexec_b64 s[18:19], s[4:5]
	s_cbranch_execz .LBB6_1131
; %bb.1126:
	v_mov_b32_e32 v4, 0
	global_load_dwordx2 v[7:8], v4, s[6:7] offset:24 glc
	s_waitcnt vmcnt(0)
	buffer_wbinvl1_vol
	global_load_dwordx2 v[0:1], v4, s[6:7] offset:40
	global_load_dwordx2 v[5:6], v4, s[6:7]
	s_waitcnt vmcnt(1)
	v_and_b32_e32 v0, v0, v7
	v_and_b32_e32 v1, v1, v8
	v_mul_lo_u32 v1, v1, 24
	v_mul_hi_u32 v9, v0, 24
	v_mul_lo_u32 v0, v0, 24
	v_add_u32_e32 v1, v9, v1
	s_waitcnt vmcnt(0)
	v_add_co_u32_e32 v0, vcc, v5, v0
	v_addc_co_u32_e32 v1, vcc, v6, v1, vcc
	global_load_dwordx2 v[5:6], v[0:1], off glc
	s_waitcnt vmcnt(0)
	global_atomic_cmpswap_x2 v[0:1], v4, v[5:8], s[6:7] offset:24 glc
	s_waitcnt vmcnt(0)
	buffer_wbinvl1_vol
	v_cmp_ne_u64_e32 vcc, v[0:1], v[7:8]
	s_and_saveexec_b64 s[20:21], vcc
	s_cbranch_execz .LBB6_1130
; %bb.1127:
	s_mov_b64 s[22:23], 0
.LBB6_1128:                             ; =>This Inner Loop Header: Depth=1
	s_sleep 1
	global_load_dwordx2 v[5:6], v4, s[6:7] offset:40
	global_load_dwordx2 v[9:10], v4, s[6:7]
	v_mov_b32_e32 v8, v1
	v_mov_b32_e32 v7, v0
	s_waitcnt vmcnt(1)
	v_and_b32_e32 v0, v5, v7
	s_waitcnt vmcnt(0)
	v_mad_u64_u32 v[0:1], s[24:25], v0, 24, v[9:10]
	v_and_b32_e32 v5, v6, v8
	v_mad_u64_u32 v[5:6], s[24:25], v5, 24, v[1:2]
	v_mov_b32_e32 v1, v5
	global_load_dwordx2 v[5:6], v[0:1], off glc
	s_waitcnt vmcnt(0)
	global_atomic_cmpswap_x2 v[0:1], v4, v[5:8], s[6:7] offset:24 glc
	s_waitcnt vmcnt(0)
	buffer_wbinvl1_vol
	v_cmp_eq_u64_e32 vcc, v[0:1], v[7:8]
	s_or_b64 s[22:23], vcc, s[22:23]
	s_andn2_b64 exec, exec, s[22:23]
	s_cbranch_execnz .LBB6_1128
; %bb.1129:
	s_or_b64 exec, exec, s[22:23]
.LBB6_1130:
	s_or_b64 exec, exec, s[20:21]
.LBB6_1131:
	s_or_b64 exec, exec, s[18:19]
	v_mov_b32_e32 v5, 0
	global_load_dwordx2 v[10:11], v5, s[6:7] offset:40
	global_load_dwordx4 v[6:9], v5, s[6:7]
	v_readfirstlane_b32 s18, v0
	v_readfirstlane_b32 s19, v1
	s_mov_b64 s[20:21], exec
	s_waitcnt vmcnt(1)
	v_readfirstlane_b32 s22, v10
	v_readfirstlane_b32 s23, v11
	s_and_b64 s[22:23], s[18:19], s[22:23]
	s_mul_i32 s15, s23, 24
	s_mul_hi_u32 s24, s22, 24
	s_mul_i32 s25, s22, 24
	s_add_i32 s15, s24, s15
	v_mov_b32_e32 v0, s15
	s_waitcnt vmcnt(0)
	v_add_co_u32_e32 v10, vcc, s25, v6
	v_addc_co_u32_e32 v11, vcc, v7, v0, vcc
	s_and_saveexec_b64 s[24:25], s[4:5]
	s_cbranch_execz .LBB6_1133
; %bb.1132:
	v_mov_b32_e32 v12, s20
	v_mov_b32_e32 v13, s21
	;; [unrolled: 1-line block ×4, first 2 shown]
	global_store_dwordx4 v[10:11], v[12:15], off offset:8
.LBB6_1133:
	s_or_b64 exec, exec, s[24:25]
	s_lshl_b64 s[20:21], s[22:23], 12
	v_mov_b32_e32 v0, s21
	v_add_co_u32_e32 v1, vcc, s20, v8
	v_addc_co_u32_e32 v0, vcc, v9, v0, vcc
	s_movk_i32 s15, 0xff1d
	v_and_or_b32 v2, v2, s15, 34
	s_mov_b32 s20, 0
	v_mov_b32_e32 v4, 58
	v_readfirstlane_b32 s24, v1
	v_readfirstlane_b32 s25, v0
	s_mov_b32 s21, s20
	s_mov_b32 s22, s20
	;; [unrolled: 1-line block ×3, first 2 shown]
	s_nop 1
	global_store_dwordx4 v31, v[2:5], s[24:25]
	v_mov_b32_e32 v0, s20
	v_mov_b32_e32 v1, s21
	;; [unrolled: 1-line block ×4, first 2 shown]
	global_store_dwordx4 v31, v[0:3], s[24:25] offset:16
	global_store_dwordx4 v31, v[0:3], s[24:25] offset:32
	;; [unrolled: 1-line block ×3, first 2 shown]
	s_and_saveexec_b64 s[20:21], s[4:5]
	s_cbranch_execz .LBB6_1141
; %bb.1134:
	v_mov_b32_e32 v8, 0
	global_load_dwordx2 v[14:15], v8, s[6:7] offset:32 glc
	global_load_dwordx2 v[0:1], v8, s[6:7] offset:40
	v_mov_b32_e32 v12, s18
	v_mov_b32_e32 v13, s19
	s_waitcnt vmcnt(0)
	v_readfirstlane_b32 s22, v0
	v_readfirstlane_b32 s23, v1
	s_and_b64 s[22:23], s[22:23], s[18:19]
	s_mul_i32 s15, s23, 24
	s_mul_hi_u32 s23, s22, 24
	s_mul_i32 s22, s22, 24
	s_add_i32 s15, s23, s15
	v_mov_b32_e32 v0, s15
	v_add_co_u32_e32 v4, vcc, s22, v6
	v_addc_co_u32_e32 v5, vcc, v7, v0, vcc
	global_store_dwordx2 v[4:5], v[14:15], off
	s_waitcnt vmcnt(0)
	global_atomic_cmpswap_x2 v[2:3], v8, v[12:15], s[6:7] offset:32 glc
	s_waitcnt vmcnt(0)
	v_cmp_ne_u64_e32 vcc, v[2:3], v[14:15]
	s_and_saveexec_b64 s[22:23], vcc
	s_cbranch_execz .LBB6_1137
; %bb.1135:
	s_mov_b64 s[24:25], 0
.LBB6_1136:                             ; =>This Inner Loop Header: Depth=1
	s_sleep 1
	global_store_dwordx2 v[4:5], v[2:3], off
	v_mov_b32_e32 v0, s18
	v_mov_b32_e32 v1, s19
	s_waitcnt vmcnt(0)
	global_atomic_cmpswap_x2 v[0:1], v8, v[0:3], s[6:7] offset:32 glc
	s_waitcnt vmcnt(0)
	v_cmp_eq_u64_e32 vcc, v[0:1], v[2:3]
	v_mov_b32_e32 v3, v1
	s_or_b64 s[24:25], vcc, s[24:25]
	v_mov_b32_e32 v2, v0
	s_andn2_b64 exec, exec, s[24:25]
	s_cbranch_execnz .LBB6_1136
.LBB6_1137:
	s_or_b64 exec, exec, s[22:23]
	v_mov_b32_e32 v3, 0
	global_load_dwordx2 v[0:1], v3, s[6:7] offset:16
	s_mov_b64 s[22:23], exec
	v_mbcnt_lo_u32_b32 v2, s22, 0
	v_mbcnt_hi_u32_b32 v2, s23, v2
	v_cmp_eq_u32_e32 vcc, 0, v2
	s_and_saveexec_b64 s[24:25], vcc
	s_cbranch_execz .LBB6_1139
; %bb.1138:
	s_bcnt1_i32_b64 s15, s[22:23]
	v_mov_b32_e32 v2, s15
	s_waitcnt vmcnt(0)
	global_atomic_add_x2 v[0:1], v[2:3], off offset:8
.LBB6_1139:
	s_or_b64 exec, exec, s[24:25]
	s_waitcnt vmcnt(0)
	global_load_dwordx2 v[2:3], v[0:1], off offset:16
	s_waitcnt vmcnt(0)
	v_cmp_eq_u64_e32 vcc, 0, v[2:3]
	s_cbranch_vccnz .LBB6_1141
; %bb.1140:
	global_load_dword v0, v[0:1], off offset:24
	v_mov_b32_e32 v1, 0
	s_waitcnt vmcnt(0)
	global_store_dwordx2 v[2:3], v[0:1], off
	v_and_b32_e32 v0, 0xffffff, v0
	v_readfirstlane_b32 m0, v0
	s_sendmsg sendmsg(MSG_INTERRUPT)
.LBB6_1141:
	s_or_b64 exec, exec, s[20:21]
	s_branch .LBB6_1145
.LBB6_1142:                             ;   in Loop: Header=BB6_1145 Depth=1
	s_or_b64 exec, exec, s[20:21]
	v_readfirstlane_b32 s15, v0
	s_cmp_eq_u32 s15, 0
	s_cbranch_scc1 .LBB6_1144
; %bb.1143:                             ;   in Loop: Header=BB6_1145 Depth=1
	s_sleep 1
	s_cbranch_execnz .LBB6_1145
	s_branch .LBB6_1147
.LBB6_1144:
	s_branch .LBB6_1147
.LBB6_1145:                             ; =>This Inner Loop Header: Depth=1
	v_mov_b32_e32 v0, 1
	s_and_saveexec_b64 s[20:21], s[4:5]
	s_cbranch_execz .LBB6_1142
; %bb.1146:                             ;   in Loop: Header=BB6_1145 Depth=1
	global_load_dword v0, v[10:11], off offset:20 glc
	s_waitcnt vmcnt(0)
	buffer_wbinvl1_vol
	v_and_b32_e32 v0, 1, v0
	s_branch .LBB6_1142
.LBB6_1147:
	s_and_saveexec_b64 s[20:21], s[4:5]
	s_cbranch_execz .LBB6_1150
; %bb.1148:
	v_mov_b32_e32 v6, 0
	global_load_dwordx2 v[2:3], v6, s[6:7] offset:40
	global_load_dwordx2 v[7:8], v6, s[6:7] offset:24 glc
	global_load_dwordx2 v[4:5], v6, s[6:7]
	v_mov_b32_e32 v1, s19
	s_mov_b64 s[4:5], 0
	s_waitcnt vmcnt(2)
	v_add_co_u32_e32 v9, vcc, 1, v2
	v_addc_co_u32_e32 v10, vcc, 0, v3, vcc
	v_add_co_u32_e32 v0, vcc, s18, v9
	v_addc_co_u32_e32 v1, vcc, v10, v1, vcc
	v_cmp_eq_u64_e32 vcc, 0, v[0:1]
	v_cndmask_b32_e32 v1, v1, v10, vcc
	v_cndmask_b32_e32 v0, v0, v9, vcc
	v_and_b32_e32 v3, v1, v3
	v_and_b32_e32 v2, v0, v2
	v_mul_lo_u32 v3, v3, 24
	v_mul_hi_u32 v9, v2, 24
	v_mul_lo_u32 v10, v2, 24
	s_waitcnt vmcnt(1)
	v_mov_b32_e32 v2, v7
	v_add_u32_e32 v3, v9, v3
	s_waitcnt vmcnt(0)
	v_add_co_u32_e32 v4, vcc, v4, v10
	v_addc_co_u32_e32 v5, vcc, v5, v3, vcc
	global_store_dwordx2 v[4:5], v[7:8], off
	v_mov_b32_e32 v3, v8
	s_waitcnt vmcnt(0)
	global_atomic_cmpswap_x2 v[2:3], v6, v[0:3], s[6:7] offset:24 glc
	s_waitcnt vmcnt(0)
	v_cmp_ne_u64_e32 vcc, v[2:3], v[7:8]
	s_and_b64 exec, exec, vcc
	s_cbranch_execz .LBB6_1150
.LBB6_1149:                             ; =>This Inner Loop Header: Depth=1
	s_sleep 1
	global_store_dwordx2 v[4:5], v[2:3], off
	s_waitcnt vmcnt(0)
	global_atomic_cmpswap_x2 v[7:8], v6, v[0:3], s[6:7] offset:24 glc
	s_waitcnt vmcnt(0)
	v_cmp_eq_u64_e32 vcc, v[7:8], v[2:3]
	v_mov_b32_e32 v2, v7
	s_or_b64 s[4:5], vcc, s[4:5]
	v_mov_b32_e32 v3, v8
	s_andn2_b64 exec, exec, s[4:5]
	s_cbranch_execnz .LBB6_1149
.LBB6_1150:
	s_or_b64 exec, exec, s[20:21]
	v_readfirstlane_b32 s4, v32
	v_mov_b32_e32 v5, 0
	v_mov_b32_e32 v6, 0
	v_cmp_eq_u32_e64 s[4:5], s4, v32
	s_and_saveexec_b64 s[18:19], s[4:5]
	s_cbranch_execz .LBB6_1156
; %bb.1151:
	v_mov_b32_e32 v0, 0
	global_load_dwordx2 v[3:4], v0, s[6:7] offset:24 glc
	s_waitcnt vmcnt(0)
	buffer_wbinvl1_vol
	global_load_dwordx2 v[1:2], v0, s[6:7] offset:40
	global_load_dwordx2 v[5:6], v0, s[6:7]
	s_waitcnt vmcnt(1)
	v_and_b32_e32 v1, v1, v3
	v_and_b32_e32 v2, v2, v4
	v_mul_lo_u32 v2, v2, 24
	v_mul_hi_u32 v7, v1, 24
	v_mul_lo_u32 v1, v1, 24
	v_add_u32_e32 v2, v7, v2
	s_waitcnt vmcnt(0)
	v_add_co_u32_e32 v1, vcc, v5, v1
	v_addc_co_u32_e32 v2, vcc, v6, v2, vcc
	global_load_dwordx2 v[1:2], v[1:2], off glc
	s_waitcnt vmcnt(0)
	global_atomic_cmpswap_x2 v[5:6], v0, v[1:4], s[6:7] offset:24 glc
	s_waitcnt vmcnt(0)
	buffer_wbinvl1_vol
	v_cmp_ne_u64_e32 vcc, v[5:6], v[3:4]
	s_and_saveexec_b64 s[20:21], vcc
	s_cbranch_execz .LBB6_1155
; %bb.1152:
	s_mov_b64 s[22:23], 0
.LBB6_1153:                             ; =>This Inner Loop Header: Depth=1
	s_sleep 1
	global_load_dwordx2 v[1:2], v0, s[6:7] offset:40
	global_load_dwordx2 v[7:8], v0, s[6:7]
	v_mov_b32_e32 v3, v5
	v_mov_b32_e32 v4, v6
	s_waitcnt vmcnt(1)
	v_and_b32_e32 v1, v1, v3
	s_waitcnt vmcnt(0)
	v_mad_u64_u32 v[5:6], s[24:25], v1, 24, v[7:8]
	v_and_b32_e32 v2, v2, v4
	v_mov_b32_e32 v1, v6
	v_mad_u64_u32 v[1:2], s[24:25], v2, 24, v[1:2]
	v_mov_b32_e32 v6, v1
	global_load_dwordx2 v[1:2], v[5:6], off glc
	s_waitcnt vmcnt(0)
	global_atomic_cmpswap_x2 v[5:6], v0, v[1:4], s[6:7] offset:24 glc
	s_waitcnt vmcnt(0)
	buffer_wbinvl1_vol
	v_cmp_eq_u64_e32 vcc, v[5:6], v[3:4]
	s_or_b64 s[22:23], vcc, s[22:23]
	s_andn2_b64 exec, exec, s[22:23]
	s_cbranch_execnz .LBB6_1153
; %bb.1154:
	s_or_b64 exec, exec, s[22:23]
.LBB6_1155:
	s_or_b64 exec, exec, s[20:21]
.LBB6_1156:
	s_or_b64 exec, exec, s[18:19]
	v_mov_b32_e32 v4, 0
	global_load_dwordx2 v[7:8], v4, s[6:7] offset:40
	global_load_dwordx4 v[0:3], v4, s[6:7]
	v_readfirstlane_b32 s18, v5
	v_readfirstlane_b32 s19, v6
	s_mov_b64 s[20:21], exec
	s_waitcnt vmcnt(1)
	v_readfirstlane_b32 s22, v7
	v_readfirstlane_b32 s23, v8
	s_and_b64 s[22:23], s[18:19], s[22:23]
	s_mul_i32 s15, s23, 24
	s_mul_hi_u32 s24, s22, 24
	s_mul_i32 s25, s22, 24
	s_add_i32 s15, s24, s15
	v_mov_b32_e32 v5, s15
	s_waitcnt vmcnt(0)
	v_add_co_u32_e32 v7, vcc, s25, v0
	v_addc_co_u32_e32 v8, vcc, v1, v5, vcc
	s_and_saveexec_b64 s[24:25], s[4:5]
	s_cbranch_execz .LBB6_1158
; %bb.1157:
	v_mov_b32_e32 v9, s20
	v_mov_b32_e32 v10, s21
	;; [unrolled: 1-line block ×4, first 2 shown]
	global_store_dwordx4 v[7:8], v[9:12], off offset:8
.LBB6_1158:
	s_or_b64 exec, exec, s[24:25]
	s_lshl_b64 s[20:21], s[22:23], 12
	v_mov_b32_e32 v5, s21
	v_add_co_u32_e32 v2, vcc, s20, v2
	v_addc_co_u32_e32 v11, vcc, v3, v5, vcc
	s_mov_b32 s20, 0
	v_mov_b32_e32 v3, 33
	v_mov_b32_e32 v5, v4
	;; [unrolled: 1-line block ×3, first 2 shown]
	v_readfirstlane_b32 s24, v2
	v_readfirstlane_b32 s25, v11
	v_add_co_u32_e32 v9, vcc, v2, v31
	s_mov_b32 s21, s20
	s_mov_b32 s22, s20
	;; [unrolled: 1-line block ×3, first 2 shown]
	s_nop 0
	global_store_dwordx4 v31, v[3:6], s[24:25]
	v_mov_b32_e32 v2, s20
	v_addc_co_u32_e32 v10, vcc, 0, v11, vcc
	v_mov_b32_e32 v3, s21
	v_mov_b32_e32 v4, s22
	;; [unrolled: 1-line block ×3, first 2 shown]
	global_store_dwordx4 v31, v[2:5], s[24:25] offset:16
	global_store_dwordx4 v31, v[2:5], s[24:25] offset:32
	;; [unrolled: 1-line block ×3, first 2 shown]
	s_and_saveexec_b64 s[20:21], s[4:5]
	s_cbranch_execz .LBB6_1166
; %bb.1159:
	v_mov_b32_e32 v6, 0
	global_load_dwordx2 v[13:14], v6, s[6:7] offset:32 glc
	global_load_dwordx2 v[2:3], v6, s[6:7] offset:40
	v_mov_b32_e32 v11, s18
	v_mov_b32_e32 v12, s19
	s_waitcnt vmcnt(0)
	v_readfirstlane_b32 s22, v2
	v_readfirstlane_b32 s23, v3
	s_and_b64 s[22:23], s[22:23], s[18:19]
	s_mul_i32 s15, s23, 24
	s_mul_hi_u32 s23, s22, 24
	s_mul_i32 s22, s22, 24
	s_add_i32 s15, s23, s15
	v_mov_b32_e32 v2, s15
	v_add_co_u32_e32 v4, vcc, s22, v0
	v_addc_co_u32_e32 v5, vcc, v1, v2, vcc
	global_store_dwordx2 v[4:5], v[13:14], off
	s_waitcnt vmcnt(0)
	global_atomic_cmpswap_x2 v[2:3], v6, v[11:14], s[6:7] offset:32 glc
	s_waitcnt vmcnt(0)
	v_cmp_ne_u64_e32 vcc, v[2:3], v[13:14]
	s_and_saveexec_b64 s[22:23], vcc
	s_cbranch_execz .LBB6_1162
; %bb.1160:
	s_mov_b64 s[24:25], 0
.LBB6_1161:                             ; =>This Inner Loop Header: Depth=1
	s_sleep 1
	global_store_dwordx2 v[4:5], v[2:3], off
	v_mov_b32_e32 v0, s18
	v_mov_b32_e32 v1, s19
	s_waitcnt vmcnt(0)
	global_atomic_cmpswap_x2 v[0:1], v6, v[0:3], s[6:7] offset:32 glc
	s_waitcnt vmcnt(0)
	v_cmp_eq_u64_e32 vcc, v[0:1], v[2:3]
	v_mov_b32_e32 v3, v1
	s_or_b64 s[24:25], vcc, s[24:25]
	v_mov_b32_e32 v2, v0
	s_andn2_b64 exec, exec, s[24:25]
	s_cbranch_execnz .LBB6_1161
.LBB6_1162:
	s_or_b64 exec, exec, s[22:23]
	v_mov_b32_e32 v3, 0
	global_load_dwordx2 v[0:1], v3, s[6:7] offset:16
	s_mov_b64 s[22:23], exec
	v_mbcnt_lo_u32_b32 v2, s22, 0
	v_mbcnt_hi_u32_b32 v2, s23, v2
	v_cmp_eq_u32_e32 vcc, 0, v2
	s_and_saveexec_b64 s[24:25], vcc
	s_cbranch_execz .LBB6_1164
; %bb.1163:
	s_bcnt1_i32_b64 s15, s[22:23]
	v_mov_b32_e32 v2, s15
	s_waitcnt vmcnt(0)
	global_atomic_add_x2 v[0:1], v[2:3], off offset:8
.LBB6_1164:
	s_or_b64 exec, exec, s[24:25]
	s_waitcnt vmcnt(0)
	global_load_dwordx2 v[2:3], v[0:1], off offset:16
	s_waitcnt vmcnt(0)
	v_cmp_eq_u64_e32 vcc, 0, v[2:3]
	s_cbranch_vccnz .LBB6_1166
; %bb.1165:
	global_load_dword v0, v[0:1], off offset:24
	v_mov_b32_e32 v1, 0
	s_waitcnt vmcnt(0)
	global_store_dwordx2 v[2:3], v[0:1], off
	v_and_b32_e32 v0, 0xffffff, v0
	v_readfirstlane_b32 m0, v0
	s_sendmsg sendmsg(MSG_INTERRUPT)
.LBB6_1166:
	s_or_b64 exec, exec, s[20:21]
	s_branch .LBB6_1170
.LBB6_1167:                             ;   in Loop: Header=BB6_1170 Depth=1
	s_or_b64 exec, exec, s[20:21]
	v_readfirstlane_b32 s15, v0
	s_cmp_eq_u32 s15, 0
	s_cbranch_scc1 .LBB6_1169
; %bb.1168:                             ;   in Loop: Header=BB6_1170 Depth=1
	s_sleep 1
	s_cbranch_execnz .LBB6_1170
	s_branch .LBB6_1172
.LBB6_1169:
	s_branch .LBB6_1172
.LBB6_1170:                             ; =>This Inner Loop Header: Depth=1
	v_mov_b32_e32 v0, 1
	s_and_saveexec_b64 s[20:21], s[4:5]
	s_cbranch_execz .LBB6_1167
; %bb.1171:                             ;   in Loop: Header=BB6_1170 Depth=1
	global_load_dword v0, v[7:8], off offset:20 glc
	s_waitcnt vmcnt(0)
	buffer_wbinvl1_vol
	v_and_b32_e32 v0, 1, v0
	s_branch .LBB6_1167
.LBB6_1172:
	global_load_dwordx2 v[0:1], v[9:10], off
	s_and_saveexec_b64 s[20:21], s[4:5]
	s_cbranch_execz .LBB6_1175
; %bb.1173:
	v_mov_b32_e32 v8, 0
	global_load_dwordx2 v[4:5], v8, s[6:7] offset:40
	global_load_dwordx2 v[9:10], v8, s[6:7] offset:24 glc
	global_load_dwordx2 v[6:7], v8, s[6:7]
	v_mov_b32_e32 v3, s19
	s_mov_b64 s[4:5], 0
	s_waitcnt vmcnt(2)
	v_add_co_u32_e32 v11, vcc, 1, v4
	v_addc_co_u32_e32 v12, vcc, 0, v5, vcc
	v_add_co_u32_e32 v2, vcc, s18, v11
	v_addc_co_u32_e32 v3, vcc, v12, v3, vcc
	v_cmp_eq_u64_e32 vcc, 0, v[2:3]
	v_cndmask_b32_e32 v3, v3, v12, vcc
	v_cndmask_b32_e32 v2, v2, v11, vcc
	v_and_b32_e32 v5, v3, v5
	v_and_b32_e32 v4, v2, v4
	v_mul_lo_u32 v5, v5, 24
	v_mul_hi_u32 v11, v4, 24
	v_mul_lo_u32 v12, v4, 24
	s_waitcnt vmcnt(1)
	v_mov_b32_e32 v4, v9
	v_add_u32_e32 v5, v11, v5
	s_waitcnt vmcnt(0)
	v_add_co_u32_e32 v6, vcc, v6, v12
	v_addc_co_u32_e32 v7, vcc, v7, v5, vcc
	global_store_dwordx2 v[6:7], v[9:10], off
	v_mov_b32_e32 v5, v10
	s_waitcnt vmcnt(0)
	global_atomic_cmpswap_x2 v[4:5], v8, v[2:5], s[6:7] offset:24 glc
	s_waitcnt vmcnt(0)
	v_cmp_ne_u64_e32 vcc, v[4:5], v[9:10]
	s_and_b64 exec, exec, vcc
	s_cbranch_execz .LBB6_1175
.LBB6_1174:                             ; =>This Inner Loop Header: Depth=1
	s_sleep 1
	global_store_dwordx2 v[6:7], v[4:5], off
	s_waitcnt vmcnt(0)
	global_atomic_cmpswap_x2 v[9:10], v8, v[2:5], s[6:7] offset:24 glc
	s_waitcnt vmcnt(0)
	v_cmp_eq_u64_e32 vcc, v[9:10], v[4:5]
	v_mov_b32_e32 v4, v9
	s_or_b64 s[4:5], vcc, s[4:5]
	v_mov_b32_e32 v5, v10
	s_andn2_b64 exec, exec, s[4:5]
	s_cbranch_execnz .LBB6_1174
.LBB6_1175:
	s_or_b64 exec, exec, s[20:21]
	s_and_b64 vcc, exec, s[16:17]
	s_cbranch_vccz .LBB6_1260
; %bb.1176:
	s_waitcnt vmcnt(0)
	v_and_b32_e32 v33, 2, v0
	v_mov_b32_e32 v28, 0
	v_and_b32_e32 v2, -3, v0
	v_mov_b32_e32 v3, v1
	s_mov_b64 s[18:19], 3
	v_mov_b32_e32 v6, 2
	v_mov_b32_e32 v7, 1
	s_getpc_b64 s[16:17]
	s_add_u32 s16, s16, .str.6@rel32@lo+4
	s_addc_u32 s17, s17, .str.6@rel32@hi+12
	s_branch .LBB6_1178
.LBB6_1177:                             ;   in Loop: Header=BB6_1178 Depth=1
	s_or_b64 exec, exec, s[24:25]
	s_sub_u32 s18, s18, s20
	s_subb_u32 s19, s19, s21
	s_add_u32 s16, s16, s20
	s_addc_u32 s17, s17, s21
	s_cmp_lg_u64 s[18:19], 0
	s_cbranch_scc0 .LBB6_1259
.LBB6_1178:                             ; =>This Loop Header: Depth=1
                                        ;     Child Loop BB6_1181 Depth 2
                                        ;     Child Loop BB6_1188 Depth 2
	;; [unrolled: 1-line block ×11, first 2 shown]
	v_cmp_lt_u64_e64 s[4:5], s[18:19], 56
	v_cmp_gt_u64_e64 s[22:23], s[18:19], 7
	s_and_b64 s[4:5], s[4:5], exec
	s_cselect_b32 s21, s19, 0
	s_cselect_b32 s20, s18, 56
	s_and_b64 vcc, exec, s[22:23]
	s_cbranch_vccnz .LBB6_1183
; %bb.1179:                             ;   in Loop: Header=BB6_1178 Depth=1
	v_mov_b32_e32 v10, 0
	s_cmp_eq_u64 s[18:19], 0
	v_mov_b32_e32 v11, 0
	s_mov_b64 s[4:5], 0
	s_cbranch_scc1 .LBB6_1182
; %bb.1180:                             ;   in Loop: Header=BB6_1178 Depth=1
	v_mov_b32_e32 v10, 0
	s_lshl_b64 s[22:23], s[20:21], 3
	s_mov_b64 s[24:25], 0
	v_mov_b32_e32 v11, 0
	s_mov_b64 s[26:27], s[16:17]
.LBB6_1181:                             ;   Parent Loop BB6_1178 Depth=1
                                        ; =>  This Inner Loop Header: Depth=2
	global_load_ubyte v4, v28, s[26:27]
	s_waitcnt vmcnt(0)
	v_and_b32_e32 v27, 0xffff, v4
	v_lshlrev_b64 v[4:5], s24, v[27:28]
	s_add_u32 s24, s24, 8
	s_addc_u32 s25, s25, 0
	s_add_u32 s26, s26, 1
	s_addc_u32 s27, s27, 0
	v_or_b32_e32 v10, v4, v10
	s_cmp_lg_u32 s22, s24
	v_or_b32_e32 v11, v5, v11
	s_cbranch_scc1 .LBB6_1181
.LBB6_1182:                             ;   in Loop: Header=BB6_1178 Depth=1
	s_mov_b32 s15, 0
	s_andn2_b64 vcc, exec, s[4:5]
	s_mov_b64 s[4:5], s[16:17]
	s_cbranch_vccz .LBB6_1184
	s_branch .LBB6_1185
.LBB6_1183:                             ;   in Loop: Header=BB6_1178 Depth=1
                                        ; implicit-def: $vgpr10_vgpr11
                                        ; implicit-def: $sgpr15
	s_mov_b64 s[4:5], s[16:17]
.LBB6_1184:                             ;   in Loop: Header=BB6_1178 Depth=1
	global_load_dwordx2 v[10:11], v28, s[16:17]
	s_add_i32 s15, s20, -8
	s_add_u32 s4, s16, 8
	s_addc_u32 s5, s17, 0
.LBB6_1185:                             ;   in Loop: Header=BB6_1178 Depth=1
	s_cmp_gt_u32 s15, 7
	s_cbranch_scc1 .LBB6_1189
; %bb.1186:                             ;   in Loop: Header=BB6_1178 Depth=1
	s_cmp_eq_u32 s15, 0
	s_cbranch_scc1 .LBB6_1190
; %bb.1187:                             ;   in Loop: Header=BB6_1178 Depth=1
	v_mov_b32_e32 v12, 0
	s_mov_b64 s[22:23], 0
	v_mov_b32_e32 v13, 0
	s_mov_b64 s[24:25], 0
.LBB6_1188:                             ;   Parent Loop BB6_1178 Depth=1
                                        ; =>  This Inner Loop Header: Depth=2
	s_add_u32 s26, s4, s24
	s_addc_u32 s27, s5, s25
	global_load_ubyte v4, v28, s[26:27]
	s_add_u32 s24, s24, 1
	s_addc_u32 s25, s25, 0
	s_waitcnt vmcnt(0)
	v_and_b32_e32 v27, 0xffff, v4
	v_lshlrev_b64 v[4:5], s22, v[27:28]
	s_add_u32 s22, s22, 8
	s_addc_u32 s23, s23, 0
	v_or_b32_e32 v12, v4, v12
	s_cmp_lg_u32 s15, s24
	v_or_b32_e32 v13, v5, v13
	s_cbranch_scc1 .LBB6_1188
	s_branch .LBB6_1191
.LBB6_1189:                             ;   in Loop: Header=BB6_1178 Depth=1
                                        ; implicit-def: $vgpr12_vgpr13
                                        ; implicit-def: $sgpr26
	s_branch .LBB6_1192
.LBB6_1190:                             ;   in Loop: Header=BB6_1178 Depth=1
	v_mov_b32_e32 v12, 0
	v_mov_b32_e32 v13, 0
.LBB6_1191:                             ;   in Loop: Header=BB6_1178 Depth=1
	s_mov_b32 s26, 0
	s_cbranch_execnz .LBB6_1193
.LBB6_1192:                             ;   in Loop: Header=BB6_1178 Depth=1
	global_load_dwordx2 v[12:13], v28, s[4:5]
	s_add_i32 s26, s15, -8
	s_add_u32 s4, s4, 8
	s_addc_u32 s5, s5, 0
.LBB6_1193:                             ;   in Loop: Header=BB6_1178 Depth=1
	s_cmp_gt_u32 s26, 7
	s_cbranch_scc1 .LBB6_1197
; %bb.1194:                             ;   in Loop: Header=BB6_1178 Depth=1
	s_cmp_eq_u32 s26, 0
	s_cbranch_scc1 .LBB6_1198
; %bb.1195:                             ;   in Loop: Header=BB6_1178 Depth=1
	v_mov_b32_e32 v14, 0
	s_mov_b64 s[22:23], 0
	v_mov_b32_e32 v15, 0
	s_mov_b64 s[24:25], 0
.LBB6_1196:                             ;   Parent Loop BB6_1178 Depth=1
                                        ; =>  This Inner Loop Header: Depth=2
	s_add_u32 s28, s4, s24
	s_addc_u32 s29, s5, s25
	global_load_ubyte v4, v28, s[28:29]
	s_add_u32 s24, s24, 1
	s_addc_u32 s25, s25, 0
	s_waitcnt vmcnt(0)
	v_and_b32_e32 v27, 0xffff, v4
	v_lshlrev_b64 v[4:5], s22, v[27:28]
	s_add_u32 s22, s22, 8
	s_addc_u32 s23, s23, 0
	v_or_b32_e32 v14, v4, v14
	s_cmp_lg_u32 s26, s24
	v_or_b32_e32 v15, v5, v15
	s_cbranch_scc1 .LBB6_1196
	s_branch .LBB6_1199
.LBB6_1197:                             ;   in Loop: Header=BB6_1178 Depth=1
                                        ; implicit-def: $sgpr15
	s_branch .LBB6_1200
.LBB6_1198:                             ;   in Loop: Header=BB6_1178 Depth=1
	v_mov_b32_e32 v14, 0
	v_mov_b32_e32 v15, 0
.LBB6_1199:                             ;   in Loop: Header=BB6_1178 Depth=1
	s_mov_b32 s15, 0
	s_cbranch_execnz .LBB6_1201
.LBB6_1200:                             ;   in Loop: Header=BB6_1178 Depth=1
	global_load_dwordx2 v[14:15], v28, s[4:5]
	s_add_i32 s15, s26, -8
	s_add_u32 s4, s4, 8
	s_addc_u32 s5, s5, 0
.LBB6_1201:                             ;   in Loop: Header=BB6_1178 Depth=1
	s_cmp_gt_u32 s15, 7
	s_cbranch_scc1 .LBB6_1205
; %bb.1202:                             ;   in Loop: Header=BB6_1178 Depth=1
	s_cmp_eq_u32 s15, 0
	s_cbranch_scc1 .LBB6_1206
; %bb.1203:                             ;   in Loop: Header=BB6_1178 Depth=1
	v_mov_b32_e32 v16, 0
	s_mov_b64 s[22:23], 0
	v_mov_b32_e32 v17, 0
	s_mov_b64 s[24:25], 0
.LBB6_1204:                             ;   Parent Loop BB6_1178 Depth=1
                                        ; =>  This Inner Loop Header: Depth=2
	s_add_u32 s26, s4, s24
	s_addc_u32 s27, s5, s25
	global_load_ubyte v4, v28, s[26:27]
	s_add_u32 s24, s24, 1
	s_addc_u32 s25, s25, 0
	s_waitcnt vmcnt(0)
	v_and_b32_e32 v27, 0xffff, v4
	v_lshlrev_b64 v[4:5], s22, v[27:28]
	s_add_u32 s22, s22, 8
	s_addc_u32 s23, s23, 0
	v_or_b32_e32 v16, v4, v16
	s_cmp_lg_u32 s15, s24
	v_or_b32_e32 v17, v5, v17
	s_cbranch_scc1 .LBB6_1204
	s_branch .LBB6_1207
.LBB6_1205:                             ;   in Loop: Header=BB6_1178 Depth=1
                                        ; implicit-def: $vgpr16_vgpr17
                                        ; implicit-def: $sgpr26
	s_branch .LBB6_1208
.LBB6_1206:                             ;   in Loop: Header=BB6_1178 Depth=1
	v_mov_b32_e32 v16, 0
	v_mov_b32_e32 v17, 0
.LBB6_1207:                             ;   in Loop: Header=BB6_1178 Depth=1
	s_mov_b32 s26, 0
	s_cbranch_execnz .LBB6_1209
.LBB6_1208:                             ;   in Loop: Header=BB6_1178 Depth=1
	global_load_dwordx2 v[16:17], v28, s[4:5]
	s_add_i32 s26, s15, -8
	s_add_u32 s4, s4, 8
	s_addc_u32 s5, s5, 0
.LBB6_1209:                             ;   in Loop: Header=BB6_1178 Depth=1
	s_cmp_gt_u32 s26, 7
	s_cbranch_scc1 .LBB6_1213
; %bb.1210:                             ;   in Loop: Header=BB6_1178 Depth=1
	s_cmp_eq_u32 s26, 0
	s_cbranch_scc1 .LBB6_1214
; %bb.1211:                             ;   in Loop: Header=BB6_1178 Depth=1
	v_mov_b32_e32 v18, 0
	s_mov_b64 s[22:23], 0
	v_mov_b32_e32 v19, 0
	s_mov_b64 s[24:25], 0
.LBB6_1212:                             ;   Parent Loop BB6_1178 Depth=1
                                        ; =>  This Inner Loop Header: Depth=2
	s_add_u32 s28, s4, s24
	s_addc_u32 s29, s5, s25
	global_load_ubyte v4, v28, s[28:29]
	s_add_u32 s24, s24, 1
	s_addc_u32 s25, s25, 0
	s_waitcnt vmcnt(0)
	v_and_b32_e32 v27, 0xffff, v4
	v_lshlrev_b64 v[4:5], s22, v[27:28]
	s_add_u32 s22, s22, 8
	s_addc_u32 s23, s23, 0
	v_or_b32_e32 v18, v4, v18
	s_cmp_lg_u32 s26, s24
	v_or_b32_e32 v19, v5, v19
	s_cbranch_scc1 .LBB6_1212
	s_branch .LBB6_1215
.LBB6_1213:                             ;   in Loop: Header=BB6_1178 Depth=1
                                        ; implicit-def: $sgpr15
	s_branch .LBB6_1216
.LBB6_1214:                             ;   in Loop: Header=BB6_1178 Depth=1
	v_mov_b32_e32 v18, 0
	v_mov_b32_e32 v19, 0
.LBB6_1215:                             ;   in Loop: Header=BB6_1178 Depth=1
	s_mov_b32 s15, 0
	s_cbranch_execnz .LBB6_1217
.LBB6_1216:                             ;   in Loop: Header=BB6_1178 Depth=1
	global_load_dwordx2 v[18:19], v28, s[4:5]
	s_add_i32 s15, s26, -8
	s_add_u32 s4, s4, 8
	s_addc_u32 s5, s5, 0
.LBB6_1217:                             ;   in Loop: Header=BB6_1178 Depth=1
	s_cmp_gt_u32 s15, 7
	s_cbranch_scc1 .LBB6_1221
; %bb.1218:                             ;   in Loop: Header=BB6_1178 Depth=1
	s_cmp_eq_u32 s15, 0
	s_cbranch_scc1 .LBB6_1222
; %bb.1219:                             ;   in Loop: Header=BB6_1178 Depth=1
	v_mov_b32_e32 v20, 0
	s_mov_b64 s[22:23], 0
	v_mov_b32_e32 v21, 0
	s_mov_b64 s[24:25], 0
.LBB6_1220:                             ;   Parent Loop BB6_1178 Depth=1
                                        ; =>  This Inner Loop Header: Depth=2
	s_add_u32 s26, s4, s24
	s_addc_u32 s27, s5, s25
	global_load_ubyte v4, v28, s[26:27]
	s_add_u32 s24, s24, 1
	s_addc_u32 s25, s25, 0
	s_waitcnt vmcnt(0)
	v_and_b32_e32 v27, 0xffff, v4
	v_lshlrev_b64 v[4:5], s22, v[27:28]
	s_add_u32 s22, s22, 8
	s_addc_u32 s23, s23, 0
	v_or_b32_e32 v20, v4, v20
	s_cmp_lg_u32 s15, s24
	v_or_b32_e32 v21, v5, v21
	s_cbranch_scc1 .LBB6_1220
	s_branch .LBB6_1223
.LBB6_1221:                             ;   in Loop: Header=BB6_1178 Depth=1
                                        ; implicit-def: $vgpr20_vgpr21
                                        ; implicit-def: $sgpr26
	s_branch .LBB6_1224
.LBB6_1222:                             ;   in Loop: Header=BB6_1178 Depth=1
	v_mov_b32_e32 v20, 0
	v_mov_b32_e32 v21, 0
.LBB6_1223:                             ;   in Loop: Header=BB6_1178 Depth=1
	s_mov_b32 s26, 0
	s_cbranch_execnz .LBB6_1225
.LBB6_1224:                             ;   in Loop: Header=BB6_1178 Depth=1
	global_load_dwordx2 v[20:21], v28, s[4:5]
	s_add_i32 s26, s15, -8
	s_add_u32 s4, s4, 8
	s_addc_u32 s5, s5, 0
.LBB6_1225:                             ;   in Loop: Header=BB6_1178 Depth=1
	s_cmp_gt_u32 s26, 7
	s_cbranch_scc1 .LBB6_1229
; %bb.1226:                             ;   in Loop: Header=BB6_1178 Depth=1
	s_cmp_eq_u32 s26, 0
	s_cbranch_scc1 .LBB6_1230
; %bb.1227:                             ;   in Loop: Header=BB6_1178 Depth=1
	v_mov_b32_e32 v22, 0
	s_mov_b64 s[22:23], 0
	v_mov_b32_e32 v23, 0
	s_mov_b64 s[24:25], s[4:5]
.LBB6_1228:                             ;   Parent Loop BB6_1178 Depth=1
                                        ; =>  This Inner Loop Header: Depth=2
	global_load_ubyte v4, v28, s[24:25]
	s_add_i32 s26, s26, -1
	s_waitcnt vmcnt(0)
	v_and_b32_e32 v27, 0xffff, v4
	v_lshlrev_b64 v[4:5], s22, v[27:28]
	s_add_u32 s22, s22, 8
	s_addc_u32 s23, s23, 0
	s_add_u32 s24, s24, 1
	s_addc_u32 s25, s25, 0
	v_or_b32_e32 v22, v4, v22
	s_cmp_lg_u32 s26, 0
	v_or_b32_e32 v23, v5, v23
	s_cbranch_scc1 .LBB6_1228
	s_branch .LBB6_1231
.LBB6_1229:                             ;   in Loop: Header=BB6_1178 Depth=1
	s_branch .LBB6_1232
.LBB6_1230:                             ;   in Loop: Header=BB6_1178 Depth=1
	v_mov_b32_e32 v22, 0
	v_mov_b32_e32 v23, 0
.LBB6_1231:                             ;   in Loop: Header=BB6_1178 Depth=1
	s_cbranch_execnz .LBB6_1233
.LBB6_1232:                             ;   in Loop: Header=BB6_1178 Depth=1
	global_load_dwordx2 v[22:23], v28, s[4:5]
.LBB6_1233:                             ;   in Loop: Header=BB6_1178 Depth=1
	v_readfirstlane_b32 s4, v32
	s_waitcnt vmcnt(0)
	v_mov_b32_e32 v4, 0
	v_mov_b32_e32 v5, 0
	v_cmp_eq_u32_e64 s[4:5], s4, v32
	s_and_saveexec_b64 s[22:23], s[4:5]
	s_cbranch_execz .LBB6_1239
; %bb.1234:                             ;   in Loop: Header=BB6_1178 Depth=1
	global_load_dwordx2 v[26:27], v28, s[6:7] offset:24 glc
	s_waitcnt vmcnt(0)
	buffer_wbinvl1_vol
	global_load_dwordx2 v[4:5], v28, s[6:7] offset:40
	global_load_dwordx2 v[8:9], v28, s[6:7]
	s_waitcnt vmcnt(1)
	v_and_b32_e32 v4, v4, v26
	v_and_b32_e32 v5, v5, v27
	v_mul_lo_u32 v5, v5, 24
	v_mul_hi_u32 v24, v4, 24
	v_mul_lo_u32 v4, v4, 24
	v_add_u32_e32 v5, v24, v5
	s_waitcnt vmcnt(0)
	v_add_co_u32_e32 v4, vcc, v8, v4
	v_addc_co_u32_e32 v5, vcc, v9, v5, vcc
	global_load_dwordx2 v[24:25], v[4:5], off glc
	s_waitcnt vmcnt(0)
	global_atomic_cmpswap_x2 v[4:5], v28, v[24:27], s[6:7] offset:24 glc
	s_waitcnt vmcnt(0)
	buffer_wbinvl1_vol
	v_cmp_ne_u64_e32 vcc, v[4:5], v[26:27]
	s_and_saveexec_b64 s[24:25], vcc
	s_cbranch_execz .LBB6_1238
; %bb.1235:                             ;   in Loop: Header=BB6_1178 Depth=1
	s_mov_b64 s[26:27], 0
.LBB6_1236:                             ;   Parent Loop BB6_1178 Depth=1
                                        ; =>  This Inner Loop Header: Depth=2
	s_sleep 1
	global_load_dwordx2 v[8:9], v28, s[6:7] offset:40
	global_load_dwordx2 v[24:25], v28, s[6:7]
	v_mov_b32_e32 v27, v5
	v_mov_b32_e32 v26, v4
	s_waitcnt vmcnt(1)
	v_and_b32_e32 v4, v8, v26
	s_waitcnt vmcnt(0)
	v_mad_u64_u32 v[4:5], s[28:29], v4, 24, v[24:25]
	v_and_b32_e32 v8, v9, v27
	v_mad_u64_u32 v[8:9], s[28:29], v8, 24, v[5:6]
	v_mov_b32_e32 v5, v8
	global_load_dwordx2 v[24:25], v[4:5], off glc
	s_waitcnt vmcnt(0)
	global_atomic_cmpswap_x2 v[4:5], v28, v[24:27], s[6:7] offset:24 glc
	s_waitcnt vmcnt(0)
	buffer_wbinvl1_vol
	v_cmp_eq_u64_e32 vcc, v[4:5], v[26:27]
	s_or_b64 s[26:27], vcc, s[26:27]
	s_andn2_b64 exec, exec, s[26:27]
	s_cbranch_execnz .LBB6_1236
; %bb.1237:                             ;   in Loop: Header=BB6_1178 Depth=1
	s_or_b64 exec, exec, s[26:27]
.LBB6_1238:                             ;   in Loop: Header=BB6_1178 Depth=1
	s_or_b64 exec, exec, s[24:25]
.LBB6_1239:                             ;   in Loop: Header=BB6_1178 Depth=1
	s_or_b64 exec, exec, s[22:23]
	global_load_dwordx2 v[8:9], v28, s[6:7] offset:40
	global_load_dwordx4 v[24:27], v28, s[6:7]
	v_readfirstlane_b32 s22, v4
	v_readfirstlane_b32 s23, v5
	s_mov_b64 s[24:25], exec
	s_waitcnt vmcnt(1)
	v_readfirstlane_b32 s26, v8
	v_readfirstlane_b32 s27, v9
	s_and_b64 s[26:27], s[22:23], s[26:27]
	s_mul_i32 s15, s27, 24
	s_mul_hi_u32 s28, s26, 24
	s_mul_i32 s29, s26, 24
	s_add_i32 s15, s28, s15
	v_mov_b32_e32 v4, s15
	s_waitcnt vmcnt(0)
	v_add_co_u32_e32 v29, vcc, s29, v24
	v_addc_co_u32_e32 v30, vcc, v25, v4, vcc
	s_and_saveexec_b64 s[28:29], s[4:5]
	s_cbranch_execz .LBB6_1241
; %bb.1240:                             ;   in Loop: Header=BB6_1178 Depth=1
	v_mov_b32_e32 v4, s24
	v_mov_b32_e32 v5, s25
	global_store_dwordx4 v[29:30], v[4:7], off offset:8
.LBB6_1241:                             ;   in Loop: Header=BB6_1178 Depth=1
	s_or_b64 exec, exec, s[28:29]
	s_lshl_b64 s[24:25], s[26:27], 12
	v_mov_b32_e32 v4, s25
	v_add_co_u32_e32 v26, vcc, s24, v26
	v_addc_co_u32_e32 v34, vcc, v27, v4, vcc
	v_cmp_gt_u64_e64 vcc, s[18:19], 56
	v_or_b32_e32 v5, v2, v33
	s_lshl_b32 s15, s20, 2
	v_cndmask_b32_e32 v2, v5, v2, vcc
	s_add_i32 s15, s15, 28
	v_or_b32_e32 v4, 0, v3
	s_and_b32 s15, s15, 0x1e0
	v_and_b32_e32 v2, 0xffffff1f, v2
	v_cndmask_b32_e32 v9, v4, v3, vcc
	v_or_b32_e32 v8, s15, v2
	v_readfirstlane_b32 s24, v26
	v_readfirstlane_b32 s25, v34
	s_nop 4
	global_store_dwordx4 v31, v[8:11], s[24:25]
	global_store_dwordx4 v31, v[12:15], s[24:25] offset:16
	global_store_dwordx4 v31, v[16:19], s[24:25] offset:32
	;; [unrolled: 1-line block ×3, first 2 shown]
	s_and_saveexec_b64 s[24:25], s[4:5]
	s_cbranch_execz .LBB6_1249
; %bb.1242:                             ;   in Loop: Header=BB6_1178 Depth=1
	global_load_dwordx2 v[12:13], v28, s[6:7] offset:32 glc
	global_load_dwordx2 v[2:3], v28, s[6:7] offset:40
	v_mov_b32_e32 v10, s22
	v_mov_b32_e32 v11, s23
	s_waitcnt vmcnt(0)
	v_readfirstlane_b32 s26, v2
	v_readfirstlane_b32 s27, v3
	s_and_b64 s[26:27], s[26:27], s[22:23]
	s_mul_i32 s15, s27, 24
	s_mul_hi_u32 s27, s26, 24
	s_mul_i32 s26, s26, 24
	s_add_i32 s15, s27, s15
	v_mov_b32_e32 v2, s15
	v_add_co_u32_e32 v8, vcc, s26, v24
	v_addc_co_u32_e32 v9, vcc, v25, v2, vcc
	global_store_dwordx2 v[8:9], v[12:13], off
	s_waitcnt vmcnt(0)
	global_atomic_cmpswap_x2 v[4:5], v28, v[10:13], s[6:7] offset:32 glc
	s_waitcnt vmcnt(0)
	v_cmp_ne_u64_e32 vcc, v[4:5], v[12:13]
	s_and_saveexec_b64 s[26:27], vcc
	s_cbranch_execz .LBB6_1245
; %bb.1243:                             ;   in Loop: Header=BB6_1178 Depth=1
	s_mov_b64 s[28:29], 0
.LBB6_1244:                             ;   Parent Loop BB6_1178 Depth=1
                                        ; =>  This Inner Loop Header: Depth=2
	s_sleep 1
	global_store_dwordx2 v[8:9], v[4:5], off
	v_mov_b32_e32 v2, s22
	v_mov_b32_e32 v3, s23
	s_waitcnt vmcnt(0)
	global_atomic_cmpswap_x2 v[2:3], v28, v[2:5], s[6:7] offset:32 glc
	s_waitcnt vmcnt(0)
	v_cmp_eq_u64_e32 vcc, v[2:3], v[4:5]
	v_mov_b32_e32 v5, v3
	s_or_b64 s[28:29], vcc, s[28:29]
	v_mov_b32_e32 v4, v2
	s_andn2_b64 exec, exec, s[28:29]
	s_cbranch_execnz .LBB6_1244
.LBB6_1245:                             ;   in Loop: Header=BB6_1178 Depth=1
	s_or_b64 exec, exec, s[26:27]
	global_load_dwordx2 v[2:3], v28, s[6:7] offset:16
	s_mov_b64 s[28:29], exec
	v_mbcnt_lo_u32_b32 v4, s28, 0
	v_mbcnt_hi_u32_b32 v4, s29, v4
	v_cmp_eq_u32_e32 vcc, 0, v4
	s_and_saveexec_b64 s[26:27], vcc
	s_cbranch_execz .LBB6_1247
; %bb.1246:                             ;   in Loop: Header=BB6_1178 Depth=1
	s_bcnt1_i32_b64 s15, s[28:29]
	v_mov_b32_e32 v27, s15
	s_waitcnt vmcnt(0)
	global_atomic_add_x2 v[2:3], v[27:28], off offset:8
.LBB6_1247:                             ;   in Loop: Header=BB6_1178 Depth=1
	s_or_b64 exec, exec, s[26:27]
	s_waitcnt vmcnt(0)
	global_load_dwordx2 v[4:5], v[2:3], off offset:16
	s_waitcnt vmcnt(0)
	v_cmp_eq_u64_e32 vcc, 0, v[4:5]
	s_cbranch_vccnz .LBB6_1249
; %bb.1248:                             ;   in Loop: Header=BB6_1178 Depth=1
	global_load_dword v27, v[2:3], off offset:24
	s_waitcnt vmcnt(0)
	v_and_b32_e32 v2, 0xffffff, v27
	v_readfirstlane_b32 m0, v2
	global_store_dwordx2 v[4:5], v[27:28], off
	s_sendmsg sendmsg(MSG_INTERRUPT)
.LBB6_1249:                             ;   in Loop: Header=BB6_1178 Depth=1
	s_or_b64 exec, exec, s[24:25]
	v_add_co_u32_e32 v2, vcc, v26, v31
	v_addc_co_u32_e32 v3, vcc, 0, v34, vcc
	s_branch .LBB6_1253
.LBB6_1250:                             ;   in Loop: Header=BB6_1253 Depth=2
	s_or_b64 exec, exec, s[24:25]
	v_readfirstlane_b32 s15, v4
	s_cmp_eq_u32 s15, 0
	s_cbranch_scc1 .LBB6_1252
; %bb.1251:                             ;   in Loop: Header=BB6_1253 Depth=2
	s_sleep 1
	s_cbranch_execnz .LBB6_1253
	s_branch .LBB6_1255
.LBB6_1252:                             ;   in Loop: Header=BB6_1178 Depth=1
	s_branch .LBB6_1255
.LBB6_1253:                             ;   Parent Loop BB6_1178 Depth=1
                                        ; =>  This Inner Loop Header: Depth=2
	v_mov_b32_e32 v4, 1
	s_and_saveexec_b64 s[24:25], s[4:5]
	s_cbranch_execz .LBB6_1250
; %bb.1254:                             ;   in Loop: Header=BB6_1253 Depth=2
	global_load_dword v4, v[29:30], off offset:20 glc
	s_waitcnt vmcnt(0)
	buffer_wbinvl1_vol
	v_and_b32_e32 v4, 1, v4
	s_branch .LBB6_1250
.LBB6_1255:                             ;   in Loop: Header=BB6_1178 Depth=1
	global_load_dwordx4 v[2:5], v[2:3], off
	s_and_saveexec_b64 s[24:25], s[4:5]
	s_cbranch_execz .LBB6_1177
; %bb.1256:                             ;   in Loop: Header=BB6_1178 Depth=1
	global_load_dwordx2 v[4:5], v28, s[6:7] offset:40
	global_load_dwordx2 v[12:13], v28, s[6:7] offset:24 glc
	global_load_dwordx2 v[14:15], v28, s[6:7]
	v_mov_b32_e32 v9, s23
	s_waitcnt vmcnt(2)
	v_add_co_u32_e32 v10, vcc, 1, v4
	v_addc_co_u32_e32 v11, vcc, 0, v5, vcc
	v_add_co_u32_e32 v8, vcc, s22, v10
	v_addc_co_u32_e32 v9, vcc, v11, v9, vcc
	v_cmp_eq_u64_e32 vcc, 0, v[8:9]
	v_cndmask_b32_e32 v9, v9, v11, vcc
	v_cndmask_b32_e32 v8, v8, v10, vcc
	v_and_b32_e32 v5, v9, v5
	v_and_b32_e32 v4, v8, v4
	v_mul_lo_u32 v5, v5, 24
	v_mul_hi_u32 v11, v4, 24
	v_mul_lo_u32 v4, v4, 24
	s_waitcnt vmcnt(1)
	v_mov_b32_e32 v10, v12
	v_add_u32_e32 v5, v11, v5
	s_waitcnt vmcnt(0)
	v_add_co_u32_e32 v4, vcc, v14, v4
	v_addc_co_u32_e32 v5, vcc, v15, v5, vcc
	global_store_dwordx2 v[4:5], v[12:13], off
	v_mov_b32_e32 v11, v13
	s_waitcnt vmcnt(0)
	global_atomic_cmpswap_x2 v[10:11], v28, v[8:11], s[6:7] offset:24 glc
	s_waitcnt vmcnt(0)
	v_cmp_ne_u64_e32 vcc, v[10:11], v[12:13]
	s_and_b64 exec, exec, vcc
	s_cbranch_execz .LBB6_1177
; %bb.1257:                             ;   in Loop: Header=BB6_1178 Depth=1
	s_mov_b64 s[4:5], 0
.LBB6_1258:                             ;   Parent Loop BB6_1178 Depth=1
                                        ; =>  This Inner Loop Header: Depth=2
	s_sleep 1
	global_store_dwordx2 v[4:5], v[10:11], off
	s_waitcnt vmcnt(0)
	global_atomic_cmpswap_x2 v[12:13], v28, v[8:11], s[6:7] offset:24 glc
	s_waitcnt vmcnt(0)
	v_cmp_eq_u64_e32 vcc, v[12:13], v[10:11]
	v_mov_b32_e32 v10, v12
	s_or_b64 s[4:5], vcc, s[4:5]
	v_mov_b32_e32 v11, v13
	s_andn2_b64 exec, exec, s[4:5]
	s_cbranch_execnz .LBB6_1258
	s_branch .LBB6_1177
.LBB6_1259:
	s_branch .LBB6_1287
.LBB6_1260:
                                        ; implicit-def: $vgpr2_vgpr3
	s_cbranch_execz .LBB6_1287
; %bb.1261:
	v_readfirstlane_b32 s4, v32
	v_mov_b32_e32 v8, 0
	v_mov_b32_e32 v9, 0
	v_cmp_eq_u32_e64 s[4:5], s4, v32
	s_and_saveexec_b64 s[16:17], s[4:5]
	s_cbranch_execz .LBB6_1267
; %bb.1262:
	s_waitcnt vmcnt(0)
	v_mov_b32_e32 v2, 0
	global_load_dwordx2 v[5:6], v2, s[6:7] offset:24 glc
	s_waitcnt vmcnt(0)
	buffer_wbinvl1_vol
	global_load_dwordx2 v[3:4], v2, s[6:7] offset:40
	global_load_dwordx2 v[7:8], v2, s[6:7]
	s_waitcnt vmcnt(1)
	v_and_b32_e32 v3, v3, v5
	v_and_b32_e32 v4, v4, v6
	v_mul_lo_u32 v4, v4, 24
	v_mul_hi_u32 v9, v3, 24
	v_mul_lo_u32 v3, v3, 24
	v_add_u32_e32 v4, v9, v4
	s_waitcnt vmcnt(0)
	v_add_co_u32_e32 v3, vcc, v7, v3
	v_addc_co_u32_e32 v4, vcc, v8, v4, vcc
	global_load_dwordx2 v[3:4], v[3:4], off glc
	s_waitcnt vmcnt(0)
	global_atomic_cmpswap_x2 v[8:9], v2, v[3:6], s[6:7] offset:24 glc
	s_waitcnt vmcnt(0)
	buffer_wbinvl1_vol
	v_cmp_ne_u64_e32 vcc, v[8:9], v[5:6]
	s_and_saveexec_b64 s[18:19], vcc
	s_cbranch_execz .LBB6_1266
; %bb.1263:
	s_mov_b64 s[20:21], 0
.LBB6_1264:                             ; =>This Inner Loop Header: Depth=1
	s_sleep 1
	global_load_dwordx2 v[3:4], v2, s[6:7] offset:40
	global_load_dwordx2 v[10:11], v2, s[6:7]
	v_mov_b32_e32 v5, v8
	v_mov_b32_e32 v6, v9
	s_waitcnt vmcnt(1)
	v_and_b32_e32 v3, v3, v5
	s_waitcnt vmcnt(0)
	v_mad_u64_u32 v[7:8], s[22:23], v3, 24, v[10:11]
	v_and_b32_e32 v4, v4, v6
	v_mov_b32_e32 v3, v8
	v_mad_u64_u32 v[3:4], s[22:23], v4, 24, v[3:4]
	v_mov_b32_e32 v8, v3
	global_load_dwordx2 v[3:4], v[7:8], off glc
	s_waitcnt vmcnt(0)
	global_atomic_cmpswap_x2 v[8:9], v2, v[3:6], s[6:7] offset:24 glc
	s_waitcnt vmcnt(0)
	buffer_wbinvl1_vol
	v_cmp_eq_u64_e32 vcc, v[8:9], v[5:6]
	s_or_b64 s[20:21], vcc, s[20:21]
	s_andn2_b64 exec, exec, s[20:21]
	s_cbranch_execnz .LBB6_1264
; %bb.1265:
	s_or_b64 exec, exec, s[20:21]
.LBB6_1266:
	s_or_b64 exec, exec, s[18:19]
.LBB6_1267:
	s_or_b64 exec, exec, s[16:17]
	s_waitcnt vmcnt(0)
	v_mov_b32_e32 v2, 0
	global_load_dwordx2 v[10:11], v2, s[6:7] offset:40
	global_load_dwordx4 v[4:7], v2, s[6:7]
	v_readfirstlane_b32 s16, v8
	v_readfirstlane_b32 s17, v9
	s_mov_b64 s[18:19], exec
	s_waitcnt vmcnt(1)
	v_readfirstlane_b32 s20, v10
	v_readfirstlane_b32 s21, v11
	s_and_b64 s[20:21], s[16:17], s[20:21]
	s_mul_i32 s15, s21, 24
	s_mul_hi_u32 s22, s20, 24
	s_mul_i32 s23, s20, 24
	s_add_i32 s15, s22, s15
	v_mov_b32_e32 v3, s15
	s_waitcnt vmcnt(0)
	v_add_co_u32_e32 v8, vcc, s23, v4
	v_addc_co_u32_e32 v9, vcc, v5, v3, vcc
	s_and_saveexec_b64 s[22:23], s[4:5]
	s_cbranch_execz .LBB6_1269
; %bb.1268:
	v_mov_b32_e32 v10, s18
	v_mov_b32_e32 v11, s19
	;; [unrolled: 1-line block ×4, first 2 shown]
	global_store_dwordx4 v[8:9], v[10:13], off offset:8
.LBB6_1269:
	s_or_b64 exec, exec, s[22:23]
	s_lshl_b64 s[18:19], s[20:21], 12
	v_mov_b32_e32 v3, s19
	v_add_co_u32_e32 v10, vcc, s18, v6
	v_addc_co_u32_e32 v11, vcc, v7, v3, vcc
	s_movk_i32 s15, 0xff1f
	v_and_or_b32 v0, v0, s15, 32
	s_mov_b32 s20, 0
	v_mov_b32_e32 v3, v2
	v_readfirstlane_b32 s18, v10
	v_readfirstlane_b32 s19, v11
	v_add_co_u32_e32 v6, vcc, v10, v31
	s_mov_b32 s21, s20
	s_mov_b32 s22, s20
	s_mov_b32 s23, s20
	s_nop 0
	global_store_dwordx4 v31, v[0:3], s[18:19]
	v_addc_co_u32_e32 v7, vcc, 0, v11, vcc
	v_mov_b32_e32 v0, s20
	v_mov_b32_e32 v1, s21
	v_mov_b32_e32 v2, s22
	v_mov_b32_e32 v3, s23
	global_store_dwordx4 v31, v[0:3], s[18:19] offset:16
	global_store_dwordx4 v31, v[0:3], s[18:19] offset:32
	;; [unrolled: 1-line block ×3, first 2 shown]
	s_and_saveexec_b64 s[18:19], s[4:5]
	s_cbranch_execz .LBB6_1277
; %bb.1270:
	v_mov_b32_e32 v10, 0
	global_load_dwordx2 v[13:14], v10, s[6:7] offset:32 glc
	global_load_dwordx2 v[0:1], v10, s[6:7] offset:40
	v_mov_b32_e32 v11, s16
	v_mov_b32_e32 v12, s17
	s_waitcnt vmcnt(0)
	v_readfirstlane_b32 s20, v0
	v_readfirstlane_b32 s21, v1
	s_and_b64 s[20:21], s[20:21], s[16:17]
	s_mul_i32 s15, s21, 24
	s_mul_hi_u32 s21, s20, 24
	s_mul_i32 s20, s20, 24
	s_add_i32 s15, s21, s15
	v_mov_b32_e32 v0, s15
	v_add_co_u32_e32 v4, vcc, s20, v4
	v_addc_co_u32_e32 v5, vcc, v5, v0, vcc
	global_store_dwordx2 v[4:5], v[13:14], off
	s_waitcnt vmcnt(0)
	global_atomic_cmpswap_x2 v[2:3], v10, v[11:14], s[6:7] offset:32 glc
	s_waitcnt vmcnt(0)
	v_cmp_ne_u64_e32 vcc, v[2:3], v[13:14]
	s_and_saveexec_b64 s[20:21], vcc
	s_cbranch_execz .LBB6_1273
; %bb.1271:
	s_mov_b64 s[22:23], 0
.LBB6_1272:                             ; =>This Inner Loop Header: Depth=1
	s_sleep 1
	global_store_dwordx2 v[4:5], v[2:3], off
	v_mov_b32_e32 v0, s16
	v_mov_b32_e32 v1, s17
	s_waitcnt vmcnt(0)
	global_atomic_cmpswap_x2 v[0:1], v10, v[0:3], s[6:7] offset:32 glc
	s_waitcnt vmcnt(0)
	v_cmp_eq_u64_e32 vcc, v[0:1], v[2:3]
	v_mov_b32_e32 v3, v1
	s_or_b64 s[22:23], vcc, s[22:23]
	v_mov_b32_e32 v2, v0
	s_andn2_b64 exec, exec, s[22:23]
	s_cbranch_execnz .LBB6_1272
.LBB6_1273:
	s_or_b64 exec, exec, s[20:21]
	v_mov_b32_e32 v3, 0
	global_load_dwordx2 v[0:1], v3, s[6:7] offset:16
	s_mov_b64 s[20:21], exec
	v_mbcnt_lo_u32_b32 v2, s20, 0
	v_mbcnt_hi_u32_b32 v2, s21, v2
	v_cmp_eq_u32_e32 vcc, 0, v2
	s_and_saveexec_b64 s[22:23], vcc
	s_cbranch_execz .LBB6_1275
; %bb.1274:
	s_bcnt1_i32_b64 s15, s[20:21]
	v_mov_b32_e32 v2, s15
	s_waitcnt vmcnt(0)
	global_atomic_add_x2 v[0:1], v[2:3], off offset:8
.LBB6_1275:
	s_or_b64 exec, exec, s[22:23]
	s_waitcnt vmcnt(0)
	global_load_dwordx2 v[2:3], v[0:1], off offset:16
	s_waitcnt vmcnt(0)
	v_cmp_eq_u64_e32 vcc, 0, v[2:3]
	s_cbranch_vccnz .LBB6_1277
; %bb.1276:
	global_load_dword v0, v[0:1], off offset:24
	v_mov_b32_e32 v1, 0
	s_waitcnt vmcnt(0)
	global_store_dwordx2 v[2:3], v[0:1], off
	v_and_b32_e32 v0, 0xffffff, v0
	v_readfirstlane_b32 m0, v0
	s_sendmsg sendmsg(MSG_INTERRUPT)
.LBB6_1277:
	s_or_b64 exec, exec, s[18:19]
	s_branch .LBB6_1281
.LBB6_1278:                             ;   in Loop: Header=BB6_1281 Depth=1
	s_or_b64 exec, exec, s[18:19]
	v_readfirstlane_b32 s15, v0
	s_cmp_eq_u32 s15, 0
	s_cbranch_scc1 .LBB6_1280
; %bb.1279:                             ;   in Loop: Header=BB6_1281 Depth=1
	s_sleep 1
	s_cbranch_execnz .LBB6_1281
	s_branch .LBB6_1283
.LBB6_1280:
	s_branch .LBB6_1283
.LBB6_1281:                             ; =>This Inner Loop Header: Depth=1
	v_mov_b32_e32 v0, 1
	s_and_saveexec_b64 s[18:19], s[4:5]
	s_cbranch_execz .LBB6_1278
; %bb.1282:                             ;   in Loop: Header=BB6_1281 Depth=1
	global_load_dword v0, v[8:9], off offset:20 glc
	s_waitcnt vmcnt(0)
	buffer_wbinvl1_vol
	v_and_b32_e32 v0, 1, v0
	s_branch .LBB6_1278
.LBB6_1283:
	global_load_dwordx2 v[2:3], v[6:7], off
	s_and_saveexec_b64 s[18:19], s[4:5]
	s_cbranch_execz .LBB6_1286
; %bb.1284:
	v_mov_b32_e32 v8, 0
	global_load_dwordx2 v[0:1], v8, s[6:7] offset:40
	global_load_dwordx2 v[9:10], v8, s[6:7] offset:24 glc
	global_load_dwordx2 v[11:12], v8, s[6:7]
	v_mov_b32_e32 v5, s17
	s_mov_b64 s[4:5], 0
	s_waitcnt vmcnt(2)
	v_add_co_u32_e32 v6, vcc, 1, v0
	v_addc_co_u32_e32 v7, vcc, 0, v1, vcc
	v_add_co_u32_e32 v4, vcc, s16, v6
	v_addc_co_u32_e32 v5, vcc, v7, v5, vcc
	v_cmp_eq_u64_e32 vcc, 0, v[4:5]
	v_cndmask_b32_e32 v5, v5, v7, vcc
	v_cndmask_b32_e32 v4, v4, v6, vcc
	v_and_b32_e32 v1, v5, v1
	v_and_b32_e32 v0, v4, v0
	v_mul_lo_u32 v1, v1, 24
	v_mul_hi_u32 v7, v0, 24
	v_mul_lo_u32 v0, v0, 24
	s_waitcnt vmcnt(1)
	v_mov_b32_e32 v6, v9
	v_add_u32_e32 v1, v7, v1
	s_waitcnt vmcnt(0)
	v_add_co_u32_e32 v0, vcc, v11, v0
	v_addc_co_u32_e32 v1, vcc, v12, v1, vcc
	global_store_dwordx2 v[0:1], v[9:10], off
	v_mov_b32_e32 v7, v10
	s_waitcnt vmcnt(0)
	global_atomic_cmpswap_x2 v[6:7], v8, v[4:7], s[6:7] offset:24 glc
	s_waitcnt vmcnt(0)
	v_cmp_ne_u64_e32 vcc, v[6:7], v[9:10]
	s_and_b64 exec, exec, vcc
	s_cbranch_execz .LBB6_1286
.LBB6_1285:                             ; =>This Inner Loop Header: Depth=1
	s_sleep 1
	global_store_dwordx2 v[0:1], v[6:7], off
	s_waitcnt vmcnt(0)
	global_atomic_cmpswap_x2 v[9:10], v8, v[4:7], s[6:7] offset:24 glc
	s_waitcnt vmcnt(0)
	v_cmp_eq_u64_e32 vcc, v[9:10], v[6:7]
	v_mov_b32_e32 v6, v9
	s_or_b64 s[4:5], vcc, s[4:5]
	v_mov_b32_e32 v7, v10
	s_andn2_b64 exec, exec, s[4:5]
	s_cbranch_execnz .LBB6_1285
.LBB6_1286:
	s_or_b64 exec, exec, s[18:19]
.LBB6_1287:
	v_readfirstlane_b32 s4, v32
	s_waitcnt vmcnt(0)
	v_mov_b32_e32 v0, 0
	v_mov_b32_e32 v1, 0
	v_cmp_eq_u32_e64 s[4:5], s4, v32
	s_and_saveexec_b64 s[16:17], s[4:5]
	s_cbranch_execz .LBB6_1293
; %bb.1288:
	v_mov_b32_e32 v4, 0
	global_load_dwordx2 v[7:8], v4, s[6:7] offset:24 glc
	s_waitcnt vmcnt(0)
	buffer_wbinvl1_vol
	global_load_dwordx2 v[0:1], v4, s[6:7] offset:40
	global_load_dwordx2 v[5:6], v4, s[6:7]
	s_waitcnt vmcnt(1)
	v_and_b32_e32 v0, v0, v7
	v_and_b32_e32 v1, v1, v8
	v_mul_lo_u32 v1, v1, 24
	v_mul_hi_u32 v9, v0, 24
	v_mul_lo_u32 v0, v0, 24
	v_add_u32_e32 v1, v9, v1
	s_waitcnt vmcnt(0)
	v_add_co_u32_e32 v0, vcc, v5, v0
	v_addc_co_u32_e32 v1, vcc, v6, v1, vcc
	global_load_dwordx2 v[5:6], v[0:1], off glc
	s_waitcnt vmcnt(0)
	global_atomic_cmpswap_x2 v[0:1], v4, v[5:8], s[6:7] offset:24 glc
	s_waitcnt vmcnt(0)
	buffer_wbinvl1_vol
	v_cmp_ne_u64_e32 vcc, v[0:1], v[7:8]
	s_and_saveexec_b64 s[18:19], vcc
	s_cbranch_execz .LBB6_1292
; %bb.1289:
	s_mov_b64 s[20:21], 0
.LBB6_1290:                             ; =>This Inner Loop Header: Depth=1
	s_sleep 1
	global_load_dwordx2 v[5:6], v4, s[6:7] offset:40
	global_load_dwordx2 v[9:10], v4, s[6:7]
	v_mov_b32_e32 v8, v1
	v_mov_b32_e32 v7, v0
	s_waitcnt vmcnt(1)
	v_and_b32_e32 v0, v5, v7
	s_waitcnt vmcnt(0)
	v_mad_u64_u32 v[0:1], s[22:23], v0, 24, v[9:10]
	v_and_b32_e32 v5, v6, v8
	v_mad_u64_u32 v[5:6], s[22:23], v5, 24, v[1:2]
	v_mov_b32_e32 v1, v5
	global_load_dwordx2 v[5:6], v[0:1], off glc
	s_waitcnt vmcnt(0)
	global_atomic_cmpswap_x2 v[0:1], v4, v[5:8], s[6:7] offset:24 glc
	s_waitcnt vmcnt(0)
	buffer_wbinvl1_vol
	v_cmp_eq_u64_e32 vcc, v[0:1], v[7:8]
	s_or_b64 s[20:21], vcc, s[20:21]
	s_andn2_b64 exec, exec, s[20:21]
	s_cbranch_execnz .LBB6_1290
; %bb.1291:
	s_or_b64 exec, exec, s[20:21]
.LBB6_1292:
	s_or_b64 exec, exec, s[18:19]
.LBB6_1293:
	s_or_b64 exec, exec, s[16:17]
	v_mov_b32_e32 v5, 0
	global_load_dwordx2 v[10:11], v5, s[6:7] offset:40
	global_load_dwordx4 v[6:9], v5, s[6:7]
	v_readfirstlane_b32 s16, v0
	v_readfirstlane_b32 s17, v1
	s_mov_b64 s[18:19], exec
	s_waitcnt vmcnt(1)
	v_readfirstlane_b32 s20, v10
	v_readfirstlane_b32 s21, v11
	s_and_b64 s[20:21], s[16:17], s[20:21]
	s_mul_i32 s15, s21, 24
	s_mul_hi_u32 s22, s20, 24
	s_mul_i32 s23, s20, 24
	s_add_i32 s15, s22, s15
	v_mov_b32_e32 v0, s15
	s_waitcnt vmcnt(0)
	v_add_co_u32_e32 v10, vcc, s23, v6
	v_addc_co_u32_e32 v11, vcc, v7, v0, vcc
	s_and_saveexec_b64 s[22:23], s[4:5]
	s_cbranch_execz .LBB6_1295
; %bb.1294:
	v_mov_b32_e32 v12, s18
	v_mov_b32_e32 v13, s19
	;; [unrolled: 1-line block ×4, first 2 shown]
	global_store_dwordx4 v[10:11], v[12:15], off offset:8
.LBB6_1295:
	s_or_b64 exec, exec, s[22:23]
	s_lshl_b64 s[18:19], s[20:21], 12
	v_mov_b32_e32 v0, s19
	v_add_co_u32_e32 v1, vcc, s18, v8
	v_addc_co_u32_e32 v0, vcc, v9, v0, vcc
	s_movk_i32 s15, 0xff1d
	v_and_or_b32 v2, v2, s15, 34
	s_mov_b32 s20, 0
	v_mov_b32_e32 v4, 10
	v_readfirstlane_b32 s18, v1
	v_readfirstlane_b32 s19, v0
	s_mov_b32 s21, s20
	s_mov_b32 s22, s20
	;; [unrolled: 1-line block ×3, first 2 shown]
	s_nop 1
	global_store_dwordx4 v31, v[2:5], s[18:19]
	v_mov_b32_e32 v0, s20
	v_mov_b32_e32 v1, s21
	;; [unrolled: 1-line block ×4, first 2 shown]
	global_store_dwordx4 v31, v[0:3], s[18:19] offset:16
	global_store_dwordx4 v31, v[0:3], s[18:19] offset:32
	;; [unrolled: 1-line block ×3, first 2 shown]
	s_and_saveexec_b64 s[18:19], s[4:5]
	s_cbranch_execz .LBB6_1303
; %bb.1296:
	v_mov_b32_e32 v8, 0
	global_load_dwordx2 v[14:15], v8, s[6:7] offset:32 glc
	global_load_dwordx2 v[0:1], v8, s[6:7] offset:40
	v_mov_b32_e32 v12, s16
	v_mov_b32_e32 v13, s17
	s_waitcnt vmcnt(0)
	v_readfirstlane_b32 s20, v0
	v_readfirstlane_b32 s21, v1
	s_and_b64 s[20:21], s[20:21], s[16:17]
	s_mul_i32 s15, s21, 24
	s_mul_hi_u32 s21, s20, 24
	s_mul_i32 s20, s20, 24
	s_add_i32 s15, s21, s15
	v_mov_b32_e32 v0, s15
	v_add_co_u32_e32 v4, vcc, s20, v6
	v_addc_co_u32_e32 v5, vcc, v7, v0, vcc
	global_store_dwordx2 v[4:5], v[14:15], off
	s_waitcnt vmcnt(0)
	global_atomic_cmpswap_x2 v[2:3], v8, v[12:15], s[6:7] offset:32 glc
	s_waitcnt vmcnt(0)
	v_cmp_ne_u64_e32 vcc, v[2:3], v[14:15]
	s_and_saveexec_b64 s[20:21], vcc
	s_cbranch_execz .LBB6_1299
; %bb.1297:
	s_mov_b64 s[22:23], 0
.LBB6_1298:                             ; =>This Inner Loop Header: Depth=1
	s_sleep 1
	global_store_dwordx2 v[4:5], v[2:3], off
	v_mov_b32_e32 v0, s16
	v_mov_b32_e32 v1, s17
	s_waitcnt vmcnt(0)
	global_atomic_cmpswap_x2 v[0:1], v8, v[0:3], s[6:7] offset:32 glc
	s_waitcnt vmcnt(0)
	v_cmp_eq_u64_e32 vcc, v[0:1], v[2:3]
	v_mov_b32_e32 v3, v1
	s_or_b64 s[22:23], vcc, s[22:23]
	v_mov_b32_e32 v2, v0
	s_andn2_b64 exec, exec, s[22:23]
	s_cbranch_execnz .LBB6_1298
.LBB6_1299:
	s_or_b64 exec, exec, s[20:21]
	v_mov_b32_e32 v3, 0
	global_load_dwordx2 v[0:1], v3, s[6:7] offset:16
	s_mov_b64 s[20:21], exec
	v_mbcnt_lo_u32_b32 v2, s20, 0
	v_mbcnt_hi_u32_b32 v2, s21, v2
	v_cmp_eq_u32_e32 vcc, 0, v2
	s_and_saveexec_b64 s[22:23], vcc
	s_cbranch_execz .LBB6_1301
; %bb.1300:
	s_bcnt1_i32_b64 s15, s[20:21]
	v_mov_b32_e32 v2, s15
	s_waitcnt vmcnt(0)
	global_atomic_add_x2 v[0:1], v[2:3], off offset:8
.LBB6_1301:
	s_or_b64 exec, exec, s[22:23]
	s_waitcnt vmcnt(0)
	global_load_dwordx2 v[2:3], v[0:1], off offset:16
	s_waitcnt vmcnt(0)
	v_cmp_eq_u64_e32 vcc, 0, v[2:3]
	s_cbranch_vccnz .LBB6_1303
; %bb.1302:
	global_load_dword v0, v[0:1], off offset:24
	v_mov_b32_e32 v1, 0
	s_waitcnt vmcnt(0)
	global_store_dwordx2 v[2:3], v[0:1], off
	v_and_b32_e32 v0, 0xffffff, v0
	v_readfirstlane_b32 m0, v0
	s_sendmsg sendmsg(MSG_INTERRUPT)
.LBB6_1303:
	s_or_b64 exec, exec, s[18:19]
	s_branch .LBB6_1307
.LBB6_1304:                             ;   in Loop: Header=BB6_1307 Depth=1
	s_or_b64 exec, exec, s[18:19]
	v_readfirstlane_b32 s15, v0
	s_cmp_eq_u32 s15, 0
	s_cbranch_scc1 .LBB6_1306
; %bb.1305:                             ;   in Loop: Header=BB6_1307 Depth=1
	s_sleep 1
	s_cbranch_execnz .LBB6_1307
	s_branch .LBB6_1309
.LBB6_1306:
	s_branch .LBB6_1309
.LBB6_1307:                             ; =>This Inner Loop Header: Depth=1
	v_mov_b32_e32 v0, 1
	s_and_saveexec_b64 s[18:19], s[4:5]
	s_cbranch_execz .LBB6_1304
; %bb.1308:                             ;   in Loop: Header=BB6_1307 Depth=1
	global_load_dword v0, v[10:11], off offset:20 glc
	s_waitcnt vmcnt(0)
	buffer_wbinvl1_vol
	v_and_b32_e32 v0, 1, v0
	s_branch .LBB6_1304
.LBB6_1309:
	s_and_saveexec_b64 s[18:19], s[4:5]
	s_cbranch_execz .LBB6_1312
; %bb.1310:
	v_mov_b32_e32 v6, 0
	global_load_dwordx2 v[2:3], v6, s[6:7] offset:40
	global_load_dwordx2 v[7:8], v6, s[6:7] offset:24 glc
	global_load_dwordx2 v[4:5], v6, s[6:7]
	v_mov_b32_e32 v1, s17
	s_mov_b64 s[4:5], 0
	s_waitcnt vmcnt(2)
	v_add_co_u32_e32 v9, vcc, 1, v2
	v_addc_co_u32_e32 v10, vcc, 0, v3, vcc
	v_add_co_u32_e32 v0, vcc, s16, v9
	v_addc_co_u32_e32 v1, vcc, v10, v1, vcc
	v_cmp_eq_u64_e32 vcc, 0, v[0:1]
	v_cndmask_b32_e32 v1, v1, v10, vcc
	v_cndmask_b32_e32 v0, v0, v9, vcc
	v_and_b32_e32 v3, v1, v3
	v_and_b32_e32 v2, v0, v2
	v_mul_lo_u32 v3, v3, 24
	v_mul_hi_u32 v9, v2, 24
	v_mul_lo_u32 v10, v2, 24
	s_waitcnt vmcnt(1)
	v_mov_b32_e32 v2, v7
	v_add_u32_e32 v3, v9, v3
	s_waitcnt vmcnt(0)
	v_add_co_u32_e32 v4, vcc, v4, v10
	v_addc_co_u32_e32 v5, vcc, v5, v3, vcc
	global_store_dwordx2 v[4:5], v[7:8], off
	v_mov_b32_e32 v3, v8
	s_waitcnt vmcnt(0)
	global_atomic_cmpswap_x2 v[2:3], v6, v[0:3], s[6:7] offset:24 glc
	s_waitcnt vmcnt(0)
	v_cmp_ne_u64_e32 vcc, v[2:3], v[7:8]
	s_and_b64 exec, exec, vcc
	s_cbranch_execz .LBB6_1312
.LBB6_1311:                             ; =>This Inner Loop Header: Depth=1
	s_sleep 1
	global_store_dwordx2 v[4:5], v[2:3], off
	s_waitcnt vmcnt(0)
	global_atomic_cmpswap_x2 v[7:8], v6, v[0:3], s[6:7] offset:24 glc
	s_waitcnt vmcnt(0)
	v_cmp_eq_u64_e32 vcc, v[7:8], v[2:3]
	v_mov_b32_e32 v2, v7
	s_or_b64 s[4:5], vcc, s[4:5]
	v_mov_b32_e32 v3, v8
	s_andn2_b64 exec, exec, s[4:5]
	s_cbranch_execnz .LBB6_1311
.LBB6_1312:
	s_or_b64 exec, exec, s[18:19]
	v_readfirstlane_b32 s4, v32
	v_mov_b32_e32 v5, 0
	v_mov_b32_e32 v6, 0
	v_cmp_eq_u32_e64 s[4:5], s4, v32
	s_and_saveexec_b64 s[16:17], s[4:5]
	s_cbranch_execz .LBB6_1318
; %bb.1313:
	v_mov_b32_e32 v0, 0
	global_load_dwordx2 v[3:4], v0, s[6:7] offset:24 glc
	s_waitcnt vmcnt(0)
	buffer_wbinvl1_vol
	global_load_dwordx2 v[1:2], v0, s[6:7] offset:40
	global_load_dwordx2 v[5:6], v0, s[6:7]
	s_waitcnt vmcnt(1)
	v_and_b32_e32 v1, v1, v3
	v_and_b32_e32 v2, v2, v4
	v_mul_lo_u32 v2, v2, 24
	v_mul_hi_u32 v7, v1, 24
	v_mul_lo_u32 v1, v1, 24
	v_add_u32_e32 v2, v7, v2
	s_waitcnt vmcnt(0)
	v_add_co_u32_e32 v1, vcc, v5, v1
	v_addc_co_u32_e32 v2, vcc, v6, v2, vcc
	global_load_dwordx2 v[1:2], v[1:2], off glc
	s_waitcnt vmcnt(0)
	global_atomic_cmpswap_x2 v[5:6], v0, v[1:4], s[6:7] offset:24 glc
	s_waitcnt vmcnt(0)
	buffer_wbinvl1_vol
	v_cmp_ne_u64_e32 vcc, v[5:6], v[3:4]
	s_and_saveexec_b64 s[18:19], vcc
	s_cbranch_execz .LBB6_1317
; %bb.1314:
	s_mov_b64 s[20:21], 0
.LBB6_1315:                             ; =>This Inner Loop Header: Depth=1
	s_sleep 1
	global_load_dwordx2 v[1:2], v0, s[6:7] offset:40
	global_load_dwordx2 v[7:8], v0, s[6:7]
	v_mov_b32_e32 v3, v5
	v_mov_b32_e32 v4, v6
	s_waitcnt vmcnt(1)
	v_and_b32_e32 v1, v1, v3
	s_waitcnt vmcnt(0)
	v_mad_u64_u32 v[5:6], s[22:23], v1, 24, v[7:8]
	v_and_b32_e32 v2, v2, v4
	v_mov_b32_e32 v1, v6
	v_mad_u64_u32 v[1:2], s[22:23], v2, 24, v[1:2]
	v_mov_b32_e32 v6, v1
	global_load_dwordx2 v[1:2], v[5:6], off glc
	s_waitcnt vmcnt(0)
	global_atomic_cmpswap_x2 v[5:6], v0, v[1:4], s[6:7] offset:24 glc
	s_waitcnt vmcnt(0)
	buffer_wbinvl1_vol
	v_cmp_eq_u64_e32 vcc, v[5:6], v[3:4]
	s_or_b64 s[20:21], vcc, s[20:21]
	s_andn2_b64 exec, exec, s[20:21]
	s_cbranch_execnz .LBB6_1315
; %bb.1316:
	s_or_b64 exec, exec, s[20:21]
.LBB6_1317:
	s_or_b64 exec, exec, s[18:19]
.LBB6_1318:
	s_or_b64 exec, exec, s[16:17]
	v_mov_b32_e32 v4, 0
	global_load_dwordx2 v[7:8], v4, s[6:7] offset:40
	global_load_dwordx4 v[0:3], v4, s[6:7]
	v_readfirstlane_b32 s16, v5
	v_readfirstlane_b32 s17, v6
	s_mov_b64 s[18:19], exec
	s_waitcnt vmcnt(1)
	v_readfirstlane_b32 s20, v7
	v_readfirstlane_b32 s21, v8
	s_and_b64 s[20:21], s[16:17], s[20:21]
	s_mul_i32 s15, s21, 24
	s_mul_hi_u32 s22, s20, 24
	s_mul_i32 s23, s20, 24
	s_add_i32 s15, s22, s15
	v_mov_b32_e32 v5, s15
	s_waitcnt vmcnt(0)
	v_add_co_u32_e32 v7, vcc, s23, v0
	v_addc_co_u32_e32 v8, vcc, v1, v5, vcc
	s_and_saveexec_b64 s[22:23], s[4:5]
	s_cbranch_execz .LBB6_1320
; %bb.1319:
	v_mov_b32_e32 v9, s18
	v_mov_b32_e32 v10, s19
	;; [unrolled: 1-line block ×4, first 2 shown]
	global_store_dwordx4 v[7:8], v[9:12], off offset:8
.LBB6_1320:
	s_or_b64 exec, exec, s[22:23]
	s_lshl_b64 s[18:19], s[20:21], 12
	v_mov_b32_e32 v5, s19
	v_add_co_u32_e32 v2, vcc, s18, v2
	v_addc_co_u32_e32 v11, vcc, v3, v5, vcc
	s_mov_b32 s20, 0
	v_mov_b32_e32 v3, 33
	v_mov_b32_e32 v5, v4
	;; [unrolled: 1-line block ×3, first 2 shown]
	v_readfirstlane_b32 s18, v2
	v_readfirstlane_b32 s19, v11
	v_add_co_u32_e32 v9, vcc, v2, v31
	s_mov_b32 s21, s20
	s_mov_b32 s22, s20
	;; [unrolled: 1-line block ×3, first 2 shown]
	s_nop 0
	global_store_dwordx4 v31, v[3:6], s[18:19]
	v_mov_b32_e32 v2, s20
	v_addc_co_u32_e32 v10, vcc, 0, v11, vcc
	v_mov_b32_e32 v3, s21
	v_mov_b32_e32 v4, s22
	;; [unrolled: 1-line block ×3, first 2 shown]
	global_store_dwordx4 v31, v[2:5], s[18:19] offset:16
	global_store_dwordx4 v31, v[2:5], s[18:19] offset:32
	;; [unrolled: 1-line block ×3, first 2 shown]
	s_and_saveexec_b64 s[18:19], s[4:5]
	s_cbranch_execz .LBB6_1328
; %bb.1321:
	v_mov_b32_e32 v6, 0
	global_load_dwordx2 v[13:14], v6, s[6:7] offset:32 glc
	global_load_dwordx2 v[2:3], v6, s[6:7] offset:40
	v_mov_b32_e32 v11, s16
	v_mov_b32_e32 v12, s17
	s_waitcnt vmcnt(0)
	v_readfirstlane_b32 s20, v2
	v_readfirstlane_b32 s21, v3
	s_and_b64 s[20:21], s[20:21], s[16:17]
	s_mul_i32 s15, s21, 24
	s_mul_hi_u32 s21, s20, 24
	s_mul_i32 s20, s20, 24
	s_add_i32 s15, s21, s15
	v_mov_b32_e32 v2, s15
	v_add_co_u32_e32 v4, vcc, s20, v0
	v_addc_co_u32_e32 v5, vcc, v1, v2, vcc
	global_store_dwordx2 v[4:5], v[13:14], off
	s_waitcnt vmcnt(0)
	global_atomic_cmpswap_x2 v[2:3], v6, v[11:14], s[6:7] offset:32 glc
	s_waitcnt vmcnt(0)
	v_cmp_ne_u64_e32 vcc, v[2:3], v[13:14]
	s_and_saveexec_b64 s[20:21], vcc
	s_cbranch_execz .LBB6_1324
; %bb.1322:
	s_mov_b64 s[22:23], 0
.LBB6_1323:                             ; =>This Inner Loop Header: Depth=1
	s_sleep 1
	global_store_dwordx2 v[4:5], v[2:3], off
	v_mov_b32_e32 v0, s16
	v_mov_b32_e32 v1, s17
	s_waitcnt vmcnt(0)
	global_atomic_cmpswap_x2 v[0:1], v6, v[0:3], s[6:7] offset:32 glc
	s_waitcnt vmcnt(0)
	v_cmp_eq_u64_e32 vcc, v[0:1], v[2:3]
	v_mov_b32_e32 v3, v1
	s_or_b64 s[22:23], vcc, s[22:23]
	v_mov_b32_e32 v2, v0
	s_andn2_b64 exec, exec, s[22:23]
	s_cbranch_execnz .LBB6_1323
.LBB6_1324:
	s_or_b64 exec, exec, s[20:21]
	v_mov_b32_e32 v3, 0
	global_load_dwordx2 v[0:1], v3, s[6:7] offset:16
	s_mov_b64 s[20:21], exec
	v_mbcnt_lo_u32_b32 v2, s20, 0
	v_mbcnt_hi_u32_b32 v2, s21, v2
	v_cmp_eq_u32_e32 vcc, 0, v2
	s_and_saveexec_b64 s[22:23], vcc
	s_cbranch_execz .LBB6_1326
; %bb.1325:
	s_bcnt1_i32_b64 s15, s[20:21]
	v_mov_b32_e32 v2, s15
	s_waitcnt vmcnt(0)
	global_atomic_add_x2 v[0:1], v[2:3], off offset:8
.LBB6_1326:
	s_or_b64 exec, exec, s[22:23]
	s_waitcnt vmcnt(0)
	global_load_dwordx2 v[2:3], v[0:1], off offset:16
	s_waitcnt vmcnt(0)
	v_cmp_eq_u64_e32 vcc, 0, v[2:3]
	s_cbranch_vccnz .LBB6_1328
; %bb.1327:
	global_load_dword v0, v[0:1], off offset:24
	v_mov_b32_e32 v1, 0
	s_waitcnt vmcnt(0)
	global_store_dwordx2 v[2:3], v[0:1], off
	v_and_b32_e32 v0, 0xffffff, v0
	v_readfirstlane_b32 m0, v0
	s_sendmsg sendmsg(MSG_INTERRUPT)
.LBB6_1328:
	s_or_b64 exec, exec, s[18:19]
	s_branch .LBB6_1332
.LBB6_1329:                             ;   in Loop: Header=BB6_1332 Depth=1
	s_or_b64 exec, exec, s[18:19]
	v_readfirstlane_b32 s15, v0
	s_cmp_eq_u32 s15, 0
	s_cbranch_scc1 .LBB6_1331
; %bb.1330:                             ;   in Loop: Header=BB6_1332 Depth=1
	s_sleep 1
	s_cbranch_execnz .LBB6_1332
	s_branch .LBB6_1334
.LBB6_1331:
	s_branch .LBB6_1334
.LBB6_1332:                             ; =>This Inner Loop Header: Depth=1
	v_mov_b32_e32 v0, 1
	s_and_saveexec_b64 s[18:19], s[4:5]
	s_cbranch_execz .LBB6_1329
; %bb.1333:                             ;   in Loop: Header=BB6_1332 Depth=1
	global_load_dword v0, v[7:8], off offset:20 glc
	s_waitcnt vmcnt(0)
	buffer_wbinvl1_vol
	v_and_b32_e32 v0, 1, v0
	s_branch .LBB6_1329
.LBB6_1334:
	global_load_dwordx2 v[4:5], v[9:10], off
	s_and_saveexec_b64 s[18:19], s[4:5]
	s_cbranch_execz .LBB6_1337
; %bb.1335:
	v_mov_b32_e32 v8, 0
	global_load_dwordx2 v[2:3], v8, s[6:7] offset:40
	global_load_dwordx2 v[9:10], v8, s[6:7] offset:24 glc
	global_load_dwordx2 v[6:7], v8, s[6:7]
	v_mov_b32_e32 v1, s17
	s_mov_b64 s[4:5], 0
	s_waitcnt vmcnt(2)
	v_add_co_u32_e32 v11, vcc, 1, v2
	v_addc_co_u32_e32 v12, vcc, 0, v3, vcc
	v_add_co_u32_e32 v0, vcc, s16, v11
	v_addc_co_u32_e32 v1, vcc, v12, v1, vcc
	v_cmp_eq_u64_e32 vcc, 0, v[0:1]
	v_cndmask_b32_e32 v1, v1, v12, vcc
	v_cndmask_b32_e32 v0, v0, v11, vcc
	v_and_b32_e32 v3, v1, v3
	v_and_b32_e32 v2, v0, v2
	v_mul_lo_u32 v3, v3, 24
	v_mul_hi_u32 v11, v2, 24
	v_mul_lo_u32 v12, v2, 24
	s_waitcnt vmcnt(1)
	v_mov_b32_e32 v2, v9
	v_add_u32_e32 v3, v11, v3
	s_waitcnt vmcnt(0)
	v_add_co_u32_e32 v6, vcc, v6, v12
	v_addc_co_u32_e32 v7, vcc, v7, v3, vcc
	global_store_dwordx2 v[6:7], v[9:10], off
	v_mov_b32_e32 v3, v10
	s_waitcnt vmcnt(0)
	global_atomic_cmpswap_x2 v[2:3], v8, v[0:3], s[6:7] offset:24 glc
	s_waitcnt vmcnt(0)
	v_cmp_ne_u64_e32 vcc, v[2:3], v[9:10]
	s_and_b64 exec, exec, vcc
	s_cbranch_execz .LBB6_1337
.LBB6_1336:                             ; =>This Inner Loop Header: Depth=1
	s_sleep 1
	global_store_dwordx2 v[6:7], v[2:3], off
	s_waitcnt vmcnt(0)
	global_atomic_cmpswap_x2 v[9:10], v8, v[0:3], s[6:7] offset:24 glc
	s_waitcnt vmcnt(0)
	v_cmp_eq_u64_e32 vcc, v[9:10], v[2:3]
	v_mov_b32_e32 v2, v9
	s_or_b64 s[4:5], vcc, s[4:5]
	v_mov_b32_e32 v3, v10
	s_andn2_b64 exec, exec, s[4:5]
	s_cbranch_execnz .LBB6_1336
.LBB6_1337:
	s_or_b64 exec, exec, s[18:19]
	s_and_b64 vcc, exec, s[10:11]
	s_cbranch_vccz .LBB6_1422
; %bb.1338:
	s_waitcnt vmcnt(0)
	v_and_b32_e32 v29, 2, v4
	v_mov_b32_e32 v26, 0
	v_and_b32_e32 v0, -3, v4
	v_mov_b32_e32 v1, v5
	s_mov_b64 s[16:17], 3
	v_mov_b32_e32 v8, 2
	v_mov_b32_e32 v9, 1
	s_getpc_b64 s[10:11]
	s_add_u32 s10, s10, .str.5@rel32@lo+4
	s_addc_u32 s11, s11, .str.5@rel32@hi+12
	s_branch .LBB6_1340
.LBB6_1339:                             ;   in Loop: Header=BB6_1340 Depth=1
	s_or_b64 exec, exec, s[22:23]
	s_sub_u32 s16, s16, s18
	s_subb_u32 s17, s17, s19
	s_add_u32 s10, s10, s18
	s_addc_u32 s11, s11, s19
	s_cmp_lg_u64 s[16:17], 0
	s_cbranch_scc0 .LBB6_1421
.LBB6_1340:                             ; =>This Loop Header: Depth=1
                                        ;     Child Loop BB6_1343 Depth 2
                                        ;     Child Loop BB6_1350 Depth 2
	;; [unrolled: 1-line block ×11, first 2 shown]
	v_cmp_lt_u64_e64 s[4:5], s[16:17], 56
	v_cmp_gt_u64_e64 s[20:21], s[16:17], 7
	s_and_b64 s[4:5], s[4:5], exec
	s_cselect_b32 s19, s17, 0
	s_cselect_b32 s18, s16, 56
	s_and_b64 vcc, exec, s[20:21]
	s_cbranch_vccnz .LBB6_1345
; %bb.1341:                             ;   in Loop: Header=BB6_1340 Depth=1
	s_waitcnt vmcnt(0)
	v_mov_b32_e32 v2, 0
	s_cmp_eq_u64 s[16:17], 0
	v_mov_b32_e32 v3, 0
	s_mov_b64 s[4:5], 0
	s_cbranch_scc1 .LBB6_1344
; %bb.1342:                             ;   in Loop: Header=BB6_1340 Depth=1
	v_mov_b32_e32 v2, 0
	s_lshl_b64 s[20:21], s[18:19], 3
	s_mov_b64 s[22:23], 0
	v_mov_b32_e32 v3, 0
	s_mov_b64 s[24:25], s[10:11]
.LBB6_1343:                             ;   Parent Loop BB6_1340 Depth=1
                                        ; =>  This Inner Loop Header: Depth=2
	global_load_ubyte v6, v26, s[24:25]
	s_waitcnt vmcnt(0)
	v_and_b32_e32 v25, 0xffff, v6
	v_lshlrev_b64 v[6:7], s22, v[25:26]
	s_add_u32 s22, s22, 8
	s_addc_u32 s23, s23, 0
	s_add_u32 s24, s24, 1
	s_addc_u32 s25, s25, 0
	v_or_b32_e32 v2, v6, v2
	s_cmp_lg_u32 s20, s22
	v_or_b32_e32 v3, v7, v3
	s_cbranch_scc1 .LBB6_1343
.LBB6_1344:                             ;   in Loop: Header=BB6_1340 Depth=1
	s_mov_b32 s15, 0
	s_andn2_b64 vcc, exec, s[4:5]
	s_mov_b64 s[4:5], s[10:11]
	s_cbranch_vccz .LBB6_1346
	s_branch .LBB6_1347
.LBB6_1345:                             ;   in Loop: Header=BB6_1340 Depth=1
                                        ; implicit-def: $vgpr2_vgpr3
                                        ; implicit-def: $sgpr15
	s_mov_b64 s[4:5], s[10:11]
.LBB6_1346:                             ;   in Loop: Header=BB6_1340 Depth=1
	global_load_dwordx2 v[2:3], v26, s[10:11]
	s_add_i32 s15, s18, -8
	s_add_u32 s4, s10, 8
	s_addc_u32 s5, s11, 0
.LBB6_1347:                             ;   in Loop: Header=BB6_1340 Depth=1
	s_cmp_gt_u32 s15, 7
	s_cbranch_scc1 .LBB6_1351
; %bb.1348:                             ;   in Loop: Header=BB6_1340 Depth=1
	s_cmp_eq_u32 s15, 0
	s_cbranch_scc1 .LBB6_1352
; %bb.1349:                             ;   in Loop: Header=BB6_1340 Depth=1
	v_mov_b32_e32 v10, 0
	s_mov_b64 s[20:21], 0
	v_mov_b32_e32 v11, 0
	s_mov_b64 s[22:23], 0
.LBB6_1350:                             ;   Parent Loop BB6_1340 Depth=1
                                        ; =>  This Inner Loop Header: Depth=2
	s_add_u32 s24, s4, s22
	s_addc_u32 s25, s5, s23
	global_load_ubyte v6, v26, s[24:25]
	s_add_u32 s22, s22, 1
	s_addc_u32 s23, s23, 0
	s_waitcnt vmcnt(0)
	v_and_b32_e32 v25, 0xffff, v6
	v_lshlrev_b64 v[6:7], s20, v[25:26]
	s_add_u32 s20, s20, 8
	s_addc_u32 s21, s21, 0
	v_or_b32_e32 v10, v6, v10
	s_cmp_lg_u32 s15, s22
	v_or_b32_e32 v11, v7, v11
	s_cbranch_scc1 .LBB6_1350
	s_branch .LBB6_1353
.LBB6_1351:                             ;   in Loop: Header=BB6_1340 Depth=1
                                        ; implicit-def: $vgpr10_vgpr11
                                        ; implicit-def: $sgpr24
	s_branch .LBB6_1354
.LBB6_1352:                             ;   in Loop: Header=BB6_1340 Depth=1
	v_mov_b32_e32 v10, 0
	v_mov_b32_e32 v11, 0
.LBB6_1353:                             ;   in Loop: Header=BB6_1340 Depth=1
	s_mov_b32 s24, 0
	s_cbranch_execnz .LBB6_1355
.LBB6_1354:                             ;   in Loop: Header=BB6_1340 Depth=1
	global_load_dwordx2 v[10:11], v26, s[4:5]
	s_add_i32 s24, s15, -8
	s_add_u32 s4, s4, 8
	s_addc_u32 s5, s5, 0
.LBB6_1355:                             ;   in Loop: Header=BB6_1340 Depth=1
	s_cmp_gt_u32 s24, 7
	s_cbranch_scc1 .LBB6_1359
; %bb.1356:                             ;   in Loop: Header=BB6_1340 Depth=1
	s_cmp_eq_u32 s24, 0
	s_cbranch_scc1 .LBB6_1360
; %bb.1357:                             ;   in Loop: Header=BB6_1340 Depth=1
	v_mov_b32_e32 v12, 0
	s_mov_b64 s[20:21], 0
	v_mov_b32_e32 v13, 0
	s_mov_b64 s[22:23], 0
.LBB6_1358:                             ;   Parent Loop BB6_1340 Depth=1
                                        ; =>  This Inner Loop Header: Depth=2
	s_add_u32 s26, s4, s22
	s_addc_u32 s27, s5, s23
	global_load_ubyte v6, v26, s[26:27]
	s_add_u32 s22, s22, 1
	s_addc_u32 s23, s23, 0
	s_waitcnt vmcnt(0)
	v_and_b32_e32 v25, 0xffff, v6
	v_lshlrev_b64 v[6:7], s20, v[25:26]
	s_add_u32 s20, s20, 8
	s_addc_u32 s21, s21, 0
	v_or_b32_e32 v12, v6, v12
	s_cmp_lg_u32 s24, s22
	v_or_b32_e32 v13, v7, v13
	s_cbranch_scc1 .LBB6_1358
	s_branch .LBB6_1361
.LBB6_1359:                             ;   in Loop: Header=BB6_1340 Depth=1
                                        ; implicit-def: $sgpr15
	s_branch .LBB6_1362
.LBB6_1360:                             ;   in Loop: Header=BB6_1340 Depth=1
	v_mov_b32_e32 v12, 0
	v_mov_b32_e32 v13, 0
.LBB6_1361:                             ;   in Loop: Header=BB6_1340 Depth=1
	s_mov_b32 s15, 0
	s_cbranch_execnz .LBB6_1363
.LBB6_1362:                             ;   in Loop: Header=BB6_1340 Depth=1
	global_load_dwordx2 v[12:13], v26, s[4:5]
	s_add_i32 s15, s24, -8
	s_add_u32 s4, s4, 8
	s_addc_u32 s5, s5, 0
.LBB6_1363:                             ;   in Loop: Header=BB6_1340 Depth=1
	s_cmp_gt_u32 s15, 7
	s_cbranch_scc1 .LBB6_1367
; %bb.1364:                             ;   in Loop: Header=BB6_1340 Depth=1
	s_cmp_eq_u32 s15, 0
	s_cbranch_scc1 .LBB6_1368
; %bb.1365:                             ;   in Loop: Header=BB6_1340 Depth=1
	v_mov_b32_e32 v14, 0
	s_mov_b64 s[20:21], 0
	v_mov_b32_e32 v15, 0
	s_mov_b64 s[22:23], 0
.LBB6_1366:                             ;   Parent Loop BB6_1340 Depth=1
                                        ; =>  This Inner Loop Header: Depth=2
	s_add_u32 s24, s4, s22
	s_addc_u32 s25, s5, s23
	global_load_ubyte v6, v26, s[24:25]
	s_add_u32 s22, s22, 1
	s_addc_u32 s23, s23, 0
	s_waitcnt vmcnt(0)
	v_and_b32_e32 v25, 0xffff, v6
	v_lshlrev_b64 v[6:7], s20, v[25:26]
	s_add_u32 s20, s20, 8
	s_addc_u32 s21, s21, 0
	v_or_b32_e32 v14, v6, v14
	s_cmp_lg_u32 s15, s22
	v_or_b32_e32 v15, v7, v15
	s_cbranch_scc1 .LBB6_1366
	s_branch .LBB6_1369
.LBB6_1367:                             ;   in Loop: Header=BB6_1340 Depth=1
                                        ; implicit-def: $vgpr14_vgpr15
                                        ; implicit-def: $sgpr24
	s_branch .LBB6_1370
.LBB6_1368:                             ;   in Loop: Header=BB6_1340 Depth=1
	v_mov_b32_e32 v14, 0
	v_mov_b32_e32 v15, 0
.LBB6_1369:                             ;   in Loop: Header=BB6_1340 Depth=1
	s_mov_b32 s24, 0
	s_cbranch_execnz .LBB6_1371
.LBB6_1370:                             ;   in Loop: Header=BB6_1340 Depth=1
	global_load_dwordx2 v[14:15], v26, s[4:5]
	s_add_i32 s24, s15, -8
	s_add_u32 s4, s4, 8
	s_addc_u32 s5, s5, 0
.LBB6_1371:                             ;   in Loop: Header=BB6_1340 Depth=1
	s_cmp_gt_u32 s24, 7
	s_cbranch_scc1 .LBB6_1375
; %bb.1372:                             ;   in Loop: Header=BB6_1340 Depth=1
	s_cmp_eq_u32 s24, 0
	s_cbranch_scc1 .LBB6_1376
; %bb.1373:                             ;   in Loop: Header=BB6_1340 Depth=1
	v_mov_b32_e32 v16, 0
	s_mov_b64 s[20:21], 0
	v_mov_b32_e32 v17, 0
	s_mov_b64 s[22:23], 0
.LBB6_1374:                             ;   Parent Loop BB6_1340 Depth=1
                                        ; =>  This Inner Loop Header: Depth=2
	s_add_u32 s26, s4, s22
	s_addc_u32 s27, s5, s23
	global_load_ubyte v6, v26, s[26:27]
	s_add_u32 s22, s22, 1
	s_addc_u32 s23, s23, 0
	s_waitcnt vmcnt(0)
	v_and_b32_e32 v25, 0xffff, v6
	v_lshlrev_b64 v[6:7], s20, v[25:26]
	s_add_u32 s20, s20, 8
	s_addc_u32 s21, s21, 0
	v_or_b32_e32 v16, v6, v16
	s_cmp_lg_u32 s24, s22
	v_or_b32_e32 v17, v7, v17
	s_cbranch_scc1 .LBB6_1374
	s_branch .LBB6_1377
.LBB6_1375:                             ;   in Loop: Header=BB6_1340 Depth=1
                                        ; implicit-def: $sgpr15
	s_branch .LBB6_1378
.LBB6_1376:                             ;   in Loop: Header=BB6_1340 Depth=1
	v_mov_b32_e32 v16, 0
	v_mov_b32_e32 v17, 0
.LBB6_1377:                             ;   in Loop: Header=BB6_1340 Depth=1
	s_mov_b32 s15, 0
	s_cbranch_execnz .LBB6_1379
.LBB6_1378:                             ;   in Loop: Header=BB6_1340 Depth=1
	global_load_dwordx2 v[16:17], v26, s[4:5]
	s_add_i32 s15, s24, -8
	s_add_u32 s4, s4, 8
	s_addc_u32 s5, s5, 0
.LBB6_1379:                             ;   in Loop: Header=BB6_1340 Depth=1
	s_cmp_gt_u32 s15, 7
	s_cbranch_scc1 .LBB6_1383
; %bb.1380:                             ;   in Loop: Header=BB6_1340 Depth=1
	s_cmp_eq_u32 s15, 0
	s_cbranch_scc1 .LBB6_1384
; %bb.1381:                             ;   in Loop: Header=BB6_1340 Depth=1
	v_mov_b32_e32 v18, 0
	s_mov_b64 s[20:21], 0
	v_mov_b32_e32 v19, 0
	s_mov_b64 s[22:23], 0
.LBB6_1382:                             ;   Parent Loop BB6_1340 Depth=1
                                        ; =>  This Inner Loop Header: Depth=2
	s_add_u32 s24, s4, s22
	s_addc_u32 s25, s5, s23
	global_load_ubyte v6, v26, s[24:25]
	s_add_u32 s22, s22, 1
	s_addc_u32 s23, s23, 0
	s_waitcnt vmcnt(0)
	v_and_b32_e32 v25, 0xffff, v6
	v_lshlrev_b64 v[6:7], s20, v[25:26]
	s_add_u32 s20, s20, 8
	s_addc_u32 s21, s21, 0
	v_or_b32_e32 v18, v6, v18
	s_cmp_lg_u32 s15, s22
	v_or_b32_e32 v19, v7, v19
	s_cbranch_scc1 .LBB6_1382
	s_branch .LBB6_1385
.LBB6_1383:                             ;   in Loop: Header=BB6_1340 Depth=1
                                        ; implicit-def: $vgpr18_vgpr19
                                        ; implicit-def: $sgpr24
	s_branch .LBB6_1386
.LBB6_1384:                             ;   in Loop: Header=BB6_1340 Depth=1
	v_mov_b32_e32 v18, 0
	v_mov_b32_e32 v19, 0
.LBB6_1385:                             ;   in Loop: Header=BB6_1340 Depth=1
	s_mov_b32 s24, 0
	s_cbranch_execnz .LBB6_1387
.LBB6_1386:                             ;   in Loop: Header=BB6_1340 Depth=1
	global_load_dwordx2 v[18:19], v26, s[4:5]
	s_add_i32 s24, s15, -8
	s_add_u32 s4, s4, 8
	s_addc_u32 s5, s5, 0
.LBB6_1387:                             ;   in Loop: Header=BB6_1340 Depth=1
	s_cmp_gt_u32 s24, 7
	s_cbranch_scc1 .LBB6_1391
; %bb.1388:                             ;   in Loop: Header=BB6_1340 Depth=1
	s_cmp_eq_u32 s24, 0
	s_cbranch_scc1 .LBB6_1392
; %bb.1389:                             ;   in Loop: Header=BB6_1340 Depth=1
	v_mov_b32_e32 v20, 0
	s_mov_b64 s[20:21], 0
	v_mov_b32_e32 v21, 0
	s_mov_b64 s[22:23], s[4:5]
.LBB6_1390:                             ;   Parent Loop BB6_1340 Depth=1
                                        ; =>  This Inner Loop Header: Depth=2
	global_load_ubyte v6, v26, s[22:23]
	s_add_i32 s24, s24, -1
	s_waitcnt vmcnt(0)
	v_and_b32_e32 v25, 0xffff, v6
	v_lshlrev_b64 v[6:7], s20, v[25:26]
	s_add_u32 s20, s20, 8
	s_addc_u32 s21, s21, 0
	s_add_u32 s22, s22, 1
	s_addc_u32 s23, s23, 0
	v_or_b32_e32 v20, v6, v20
	s_cmp_lg_u32 s24, 0
	v_or_b32_e32 v21, v7, v21
	s_cbranch_scc1 .LBB6_1390
	s_branch .LBB6_1393
.LBB6_1391:                             ;   in Loop: Header=BB6_1340 Depth=1
	s_branch .LBB6_1394
.LBB6_1392:                             ;   in Loop: Header=BB6_1340 Depth=1
	v_mov_b32_e32 v20, 0
	v_mov_b32_e32 v21, 0
.LBB6_1393:                             ;   in Loop: Header=BB6_1340 Depth=1
	s_cbranch_execnz .LBB6_1395
.LBB6_1394:                             ;   in Loop: Header=BB6_1340 Depth=1
	global_load_dwordx2 v[20:21], v26, s[4:5]
.LBB6_1395:                             ;   in Loop: Header=BB6_1340 Depth=1
	v_readfirstlane_b32 s4, v32
	v_mov_b32_e32 v6, 0
	v_mov_b32_e32 v7, 0
	v_cmp_eq_u32_e64 s[4:5], s4, v32
	s_and_saveexec_b64 s[20:21], s[4:5]
	s_cbranch_execz .LBB6_1401
; %bb.1396:                             ;   in Loop: Header=BB6_1340 Depth=1
	global_load_dwordx2 v[24:25], v26, s[6:7] offset:24 glc
	s_waitcnt vmcnt(0)
	buffer_wbinvl1_vol
	global_load_dwordx2 v[6:7], v26, s[6:7] offset:40
	global_load_dwordx2 v[22:23], v26, s[6:7]
	s_waitcnt vmcnt(1)
	v_and_b32_e32 v6, v6, v24
	v_and_b32_e32 v7, v7, v25
	v_mul_lo_u32 v7, v7, 24
	v_mul_hi_u32 v27, v6, 24
	v_mul_lo_u32 v6, v6, 24
	v_add_u32_e32 v7, v27, v7
	s_waitcnt vmcnt(0)
	v_add_co_u32_e32 v6, vcc, v22, v6
	v_addc_co_u32_e32 v7, vcc, v23, v7, vcc
	global_load_dwordx2 v[22:23], v[6:7], off glc
	s_waitcnt vmcnt(0)
	global_atomic_cmpswap_x2 v[6:7], v26, v[22:25], s[6:7] offset:24 glc
	s_waitcnt vmcnt(0)
	buffer_wbinvl1_vol
	v_cmp_ne_u64_e32 vcc, v[6:7], v[24:25]
	s_and_saveexec_b64 s[22:23], vcc
	s_cbranch_execz .LBB6_1400
; %bb.1397:                             ;   in Loop: Header=BB6_1340 Depth=1
	s_mov_b64 s[24:25], 0
.LBB6_1398:                             ;   Parent Loop BB6_1340 Depth=1
                                        ; =>  This Inner Loop Header: Depth=2
	s_sleep 1
	global_load_dwordx2 v[22:23], v26, s[6:7] offset:40
	global_load_dwordx2 v[27:28], v26, s[6:7]
	v_mov_b32_e32 v25, v7
	v_mov_b32_e32 v24, v6
	s_waitcnt vmcnt(1)
	v_and_b32_e32 v6, v22, v24
	s_waitcnt vmcnt(0)
	v_mad_u64_u32 v[6:7], s[26:27], v6, 24, v[27:28]
	v_and_b32_e32 v22, v23, v25
	v_mad_u64_u32 v[22:23], s[26:27], v22, 24, v[7:8]
	v_mov_b32_e32 v7, v22
	global_load_dwordx2 v[22:23], v[6:7], off glc
	s_waitcnt vmcnt(0)
	global_atomic_cmpswap_x2 v[6:7], v26, v[22:25], s[6:7] offset:24 glc
	s_waitcnt vmcnt(0)
	buffer_wbinvl1_vol
	v_cmp_eq_u64_e32 vcc, v[6:7], v[24:25]
	s_or_b64 s[24:25], vcc, s[24:25]
	s_andn2_b64 exec, exec, s[24:25]
	s_cbranch_execnz .LBB6_1398
; %bb.1399:                             ;   in Loop: Header=BB6_1340 Depth=1
	s_or_b64 exec, exec, s[24:25]
.LBB6_1400:                             ;   in Loop: Header=BB6_1340 Depth=1
	s_or_b64 exec, exec, s[22:23]
.LBB6_1401:                             ;   in Loop: Header=BB6_1340 Depth=1
	s_or_b64 exec, exec, s[20:21]
	global_load_dwordx2 v[27:28], v26, s[6:7] offset:40
	global_load_dwordx4 v[22:25], v26, s[6:7]
	v_readfirstlane_b32 s20, v6
	v_readfirstlane_b32 s21, v7
	s_mov_b64 s[22:23], exec
	s_waitcnt vmcnt(1)
	v_readfirstlane_b32 s24, v27
	v_readfirstlane_b32 s25, v28
	s_and_b64 s[24:25], s[20:21], s[24:25]
	s_mul_i32 s15, s25, 24
	s_mul_hi_u32 s26, s24, 24
	s_mul_i32 s27, s24, 24
	s_add_i32 s15, s26, s15
	v_mov_b32_e32 v6, s15
	s_waitcnt vmcnt(0)
	v_add_co_u32_e32 v27, vcc, s27, v22
	v_addc_co_u32_e32 v28, vcc, v23, v6, vcc
	s_and_saveexec_b64 s[26:27], s[4:5]
	s_cbranch_execz .LBB6_1403
; %bb.1402:                             ;   in Loop: Header=BB6_1340 Depth=1
	v_mov_b32_e32 v6, s22
	v_mov_b32_e32 v7, s23
	global_store_dwordx4 v[27:28], v[6:9], off offset:8
.LBB6_1403:                             ;   in Loop: Header=BB6_1340 Depth=1
	s_or_b64 exec, exec, s[26:27]
	s_lshl_b64 s[22:23], s[24:25], 12
	v_mov_b32_e32 v6, s23
	v_add_co_u32_e32 v24, vcc, s22, v24
	v_addc_co_u32_e32 v30, vcc, v25, v6, vcc
	v_cmp_gt_u64_e64 vcc, s[16:17], 56
	v_or_b32_e32 v7, v0, v29
	s_lshl_b32 s15, s18, 2
	v_cndmask_b32_e32 v0, v7, v0, vcc
	s_add_i32 s15, s15, 28
	v_or_b32_e32 v6, 0, v1
	s_and_b32 s15, s15, 0x1e0
	v_and_b32_e32 v0, 0xffffff1f, v0
	v_cndmask_b32_e32 v1, v6, v1, vcc
	v_or_b32_e32 v0, s15, v0
	v_readfirstlane_b32 s22, v24
	v_readfirstlane_b32 s23, v30
	s_nop 4
	global_store_dwordx4 v31, v[0:3], s[22:23]
	global_store_dwordx4 v31, v[10:13], s[22:23] offset:16
	global_store_dwordx4 v31, v[14:17], s[22:23] offset:32
	;; [unrolled: 1-line block ×3, first 2 shown]
	s_and_saveexec_b64 s[22:23], s[4:5]
	s_cbranch_execz .LBB6_1411
; %bb.1404:                             ;   in Loop: Header=BB6_1340 Depth=1
	global_load_dwordx2 v[12:13], v26, s[6:7] offset:32 glc
	global_load_dwordx2 v[0:1], v26, s[6:7] offset:40
	v_mov_b32_e32 v10, s20
	v_mov_b32_e32 v11, s21
	s_waitcnt vmcnt(0)
	v_readfirstlane_b32 s24, v0
	v_readfirstlane_b32 s25, v1
	s_and_b64 s[24:25], s[24:25], s[20:21]
	s_mul_i32 s15, s25, 24
	s_mul_hi_u32 s25, s24, 24
	s_mul_i32 s24, s24, 24
	s_add_i32 s15, s25, s15
	v_mov_b32_e32 v0, s15
	v_add_co_u32_e32 v6, vcc, s24, v22
	v_addc_co_u32_e32 v7, vcc, v23, v0, vcc
	global_store_dwordx2 v[6:7], v[12:13], off
	s_waitcnt vmcnt(0)
	global_atomic_cmpswap_x2 v[2:3], v26, v[10:13], s[6:7] offset:32 glc
	s_waitcnt vmcnt(0)
	v_cmp_ne_u64_e32 vcc, v[2:3], v[12:13]
	s_and_saveexec_b64 s[24:25], vcc
	s_cbranch_execz .LBB6_1407
; %bb.1405:                             ;   in Loop: Header=BB6_1340 Depth=1
	s_mov_b64 s[26:27], 0
.LBB6_1406:                             ;   Parent Loop BB6_1340 Depth=1
                                        ; =>  This Inner Loop Header: Depth=2
	s_sleep 1
	global_store_dwordx2 v[6:7], v[2:3], off
	v_mov_b32_e32 v0, s20
	v_mov_b32_e32 v1, s21
	s_waitcnt vmcnt(0)
	global_atomic_cmpswap_x2 v[0:1], v26, v[0:3], s[6:7] offset:32 glc
	s_waitcnt vmcnt(0)
	v_cmp_eq_u64_e32 vcc, v[0:1], v[2:3]
	v_mov_b32_e32 v3, v1
	s_or_b64 s[26:27], vcc, s[26:27]
	v_mov_b32_e32 v2, v0
	s_andn2_b64 exec, exec, s[26:27]
	s_cbranch_execnz .LBB6_1406
.LBB6_1407:                             ;   in Loop: Header=BB6_1340 Depth=1
	s_or_b64 exec, exec, s[24:25]
	global_load_dwordx2 v[0:1], v26, s[6:7] offset:16
	s_mov_b64 s[26:27], exec
	v_mbcnt_lo_u32_b32 v2, s26, 0
	v_mbcnt_hi_u32_b32 v2, s27, v2
	v_cmp_eq_u32_e32 vcc, 0, v2
	s_and_saveexec_b64 s[24:25], vcc
	s_cbranch_execz .LBB6_1409
; %bb.1408:                             ;   in Loop: Header=BB6_1340 Depth=1
	s_bcnt1_i32_b64 s15, s[26:27]
	v_mov_b32_e32 v25, s15
	s_waitcnt vmcnt(0)
	global_atomic_add_x2 v[0:1], v[25:26], off offset:8
.LBB6_1409:                             ;   in Loop: Header=BB6_1340 Depth=1
	s_or_b64 exec, exec, s[24:25]
	s_waitcnt vmcnt(0)
	global_load_dwordx2 v[2:3], v[0:1], off offset:16
	s_waitcnt vmcnt(0)
	v_cmp_eq_u64_e32 vcc, 0, v[2:3]
	s_cbranch_vccnz .LBB6_1411
; %bb.1410:                             ;   in Loop: Header=BB6_1340 Depth=1
	global_load_dword v25, v[0:1], off offset:24
	s_waitcnt vmcnt(0)
	v_and_b32_e32 v0, 0xffffff, v25
	v_readfirstlane_b32 m0, v0
	global_store_dwordx2 v[2:3], v[25:26], off
	s_sendmsg sendmsg(MSG_INTERRUPT)
.LBB6_1411:                             ;   in Loop: Header=BB6_1340 Depth=1
	s_or_b64 exec, exec, s[22:23]
	v_add_co_u32_e32 v0, vcc, v24, v31
	v_addc_co_u32_e32 v1, vcc, 0, v30, vcc
	s_branch .LBB6_1415
.LBB6_1412:                             ;   in Loop: Header=BB6_1415 Depth=2
	s_or_b64 exec, exec, s[22:23]
	v_readfirstlane_b32 s15, v2
	s_cmp_eq_u32 s15, 0
	s_cbranch_scc1 .LBB6_1414
; %bb.1413:                             ;   in Loop: Header=BB6_1415 Depth=2
	s_sleep 1
	s_cbranch_execnz .LBB6_1415
	s_branch .LBB6_1417
.LBB6_1414:                             ;   in Loop: Header=BB6_1340 Depth=1
	s_branch .LBB6_1417
.LBB6_1415:                             ;   Parent Loop BB6_1340 Depth=1
                                        ; =>  This Inner Loop Header: Depth=2
	v_mov_b32_e32 v2, 1
	s_and_saveexec_b64 s[22:23], s[4:5]
	s_cbranch_execz .LBB6_1412
; %bb.1416:                             ;   in Loop: Header=BB6_1415 Depth=2
	global_load_dword v2, v[27:28], off offset:20 glc
	s_waitcnt vmcnt(0)
	buffer_wbinvl1_vol
	v_and_b32_e32 v2, 1, v2
	s_branch .LBB6_1412
.LBB6_1417:                             ;   in Loop: Header=BB6_1340 Depth=1
	global_load_dwordx4 v[0:3], v[0:1], off
	s_and_saveexec_b64 s[22:23], s[4:5]
	s_cbranch_execz .LBB6_1339
; %bb.1418:                             ;   in Loop: Header=BB6_1340 Depth=1
	global_load_dwordx2 v[2:3], v26, s[6:7] offset:40
	global_load_dwordx2 v[6:7], v26, s[6:7] offset:24 glc
	global_load_dwordx2 v[13:14], v26, s[6:7]
	v_mov_b32_e32 v11, s21
	s_waitcnt vmcnt(2)
	v_add_co_u32_e32 v12, vcc, 1, v2
	v_addc_co_u32_e32 v15, vcc, 0, v3, vcc
	v_add_co_u32_e32 v10, vcc, s20, v12
	v_addc_co_u32_e32 v11, vcc, v15, v11, vcc
	v_cmp_eq_u64_e32 vcc, 0, v[10:11]
	v_cndmask_b32_e32 v11, v11, v15, vcc
	v_cndmask_b32_e32 v10, v10, v12, vcc
	v_and_b32_e32 v3, v11, v3
	v_and_b32_e32 v2, v10, v2
	v_mul_lo_u32 v3, v3, 24
	v_mul_hi_u32 v15, v2, 24
	v_mul_lo_u32 v2, v2, 24
	s_waitcnt vmcnt(1)
	v_mov_b32_e32 v12, v6
	v_add_u32_e32 v3, v15, v3
	s_waitcnt vmcnt(0)
	v_add_co_u32_e32 v2, vcc, v13, v2
	v_addc_co_u32_e32 v3, vcc, v14, v3, vcc
	global_store_dwordx2 v[2:3], v[6:7], off
	v_mov_b32_e32 v13, v7
	s_waitcnt vmcnt(0)
	global_atomic_cmpswap_x2 v[12:13], v26, v[10:13], s[6:7] offset:24 glc
	s_waitcnt vmcnt(0)
	v_cmp_ne_u64_e32 vcc, v[12:13], v[6:7]
	s_and_b64 exec, exec, vcc
	s_cbranch_execz .LBB6_1339
; %bb.1419:                             ;   in Loop: Header=BB6_1340 Depth=1
	s_mov_b64 s[4:5], 0
.LBB6_1420:                             ;   Parent Loop BB6_1340 Depth=1
                                        ; =>  This Inner Loop Header: Depth=2
	s_sleep 1
	global_store_dwordx2 v[2:3], v[12:13], off
	s_waitcnt vmcnt(0)
	global_atomic_cmpswap_x2 v[6:7], v26, v[10:13], s[6:7] offset:24 glc
	s_waitcnt vmcnt(0)
	v_cmp_eq_u64_e32 vcc, v[6:7], v[12:13]
	v_mov_b32_e32 v13, v7
	s_or_b64 s[4:5], vcc, s[4:5]
	v_mov_b32_e32 v12, v6
	s_andn2_b64 exec, exec, s[4:5]
	s_cbranch_execnz .LBB6_1420
	s_branch .LBB6_1339
.LBB6_1421:
	s_branch .LBB6_1449
.LBB6_1422:
                                        ; implicit-def: $vgpr0_vgpr1
	s_cbranch_execz .LBB6_1449
; %bb.1423:
	v_readfirstlane_b32 s4, v32
	v_mov_b32_e32 v7, 0
	v_mov_b32_e32 v8, 0
	v_cmp_eq_u32_e64 s[4:5], s4, v32
	s_and_saveexec_b64 s[10:11], s[4:5]
	s_cbranch_execz .LBB6_1429
; %bb.1424:
	s_waitcnt vmcnt(0)
	v_mov_b32_e32 v0, 0
	global_load_dwordx2 v[9:10], v0, s[6:7] offset:24 glc
	s_waitcnt vmcnt(0)
	buffer_wbinvl1_vol
	global_load_dwordx2 v[1:2], v0, s[6:7] offset:40
	global_load_dwordx2 v[6:7], v0, s[6:7]
	s_waitcnt vmcnt(1)
	v_and_b32_e32 v1, v1, v9
	v_and_b32_e32 v2, v2, v10
	v_mul_lo_u32 v2, v2, 24
	v_mul_hi_u32 v3, v1, 24
	v_mul_lo_u32 v1, v1, 24
	v_add_u32_e32 v2, v3, v2
	s_waitcnt vmcnt(0)
	v_add_co_u32_e32 v1, vcc, v6, v1
	v_addc_co_u32_e32 v2, vcc, v7, v2, vcc
	global_load_dwordx2 v[7:8], v[1:2], off glc
	s_waitcnt vmcnt(0)
	global_atomic_cmpswap_x2 v[7:8], v0, v[7:10], s[6:7] offset:24 glc
	s_waitcnt vmcnt(0)
	buffer_wbinvl1_vol
	v_cmp_ne_u64_e32 vcc, v[7:8], v[9:10]
	s_and_saveexec_b64 s[16:17], vcc
	s_cbranch_execz .LBB6_1428
; %bb.1425:
	s_mov_b64 s[18:19], 0
.LBB6_1426:                             ; =>This Inner Loop Header: Depth=1
	s_sleep 1
	global_load_dwordx2 v[1:2], v0, s[6:7] offset:40
	global_load_dwordx2 v[11:12], v0, s[6:7]
	v_mov_b32_e32 v10, v8
	v_mov_b32_e32 v9, v7
	s_waitcnt vmcnt(1)
	v_and_b32_e32 v1, v1, v9
	s_waitcnt vmcnt(0)
	v_mad_u64_u32 v[6:7], s[20:21], v1, 24, v[11:12]
	v_and_b32_e32 v2, v2, v10
	v_mov_b32_e32 v1, v7
	v_mad_u64_u32 v[1:2], s[20:21], v2, 24, v[1:2]
	v_mov_b32_e32 v7, v1
	global_load_dwordx2 v[7:8], v[6:7], off glc
	s_waitcnt vmcnt(0)
	global_atomic_cmpswap_x2 v[7:8], v0, v[7:10], s[6:7] offset:24 glc
	s_waitcnt vmcnt(0)
	buffer_wbinvl1_vol
	v_cmp_eq_u64_e32 vcc, v[7:8], v[9:10]
	s_or_b64 s[18:19], vcc, s[18:19]
	s_andn2_b64 exec, exec, s[18:19]
	s_cbranch_execnz .LBB6_1426
; %bb.1427:
	s_or_b64 exec, exec, s[18:19]
.LBB6_1428:
	s_or_b64 exec, exec, s[16:17]
.LBB6_1429:
	s_or_b64 exec, exec, s[10:11]
	v_mov_b32_e32 v6, 0
	global_load_dwordx2 v[9:10], v6, s[6:7] offset:40
	global_load_dwordx4 v[0:3], v6, s[6:7]
	v_readfirstlane_b32 s10, v7
	v_readfirstlane_b32 s11, v8
	s_mov_b64 s[16:17], exec
	s_waitcnt vmcnt(1)
	v_readfirstlane_b32 s18, v9
	v_readfirstlane_b32 s19, v10
	s_and_b64 s[18:19], s[10:11], s[18:19]
	s_mul_i32 s15, s19, 24
	s_mul_hi_u32 s20, s18, 24
	s_mul_i32 s21, s18, 24
	s_add_i32 s15, s20, s15
	v_mov_b32_e32 v7, s15
	s_waitcnt vmcnt(0)
	v_add_co_u32_e32 v8, vcc, s21, v0
	v_addc_co_u32_e32 v9, vcc, v1, v7, vcc
	s_and_saveexec_b64 s[20:21], s[4:5]
	s_cbranch_execz .LBB6_1431
; %bb.1430:
	v_mov_b32_e32 v10, s16
	v_mov_b32_e32 v11, s17
	;; [unrolled: 1-line block ×4, first 2 shown]
	global_store_dwordx4 v[8:9], v[10:13], off offset:8
.LBB6_1431:
	s_or_b64 exec, exec, s[20:21]
	s_lshl_b64 s[16:17], s[18:19], 12
	v_mov_b32_e32 v7, s17
	v_add_co_u32_e32 v2, vcc, s16, v2
	v_addc_co_u32_e32 v3, vcc, v3, v7, vcc
	s_movk_i32 s15, 0xff1f
	v_and_or_b32 v4, v4, s15, 32
	v_add_co_u32_e32 v10, vcc, v2, v31
	s_mov_b32 s16, 0
	v_mov_b32_e32 v7, v6
	v_readfirstlane_b32 s20, v2
	v_readfirstlane_b32 s21, v3
	v_addc_co_u32_e32 v11, vcc, 0, v3, vcc
	s_mov_b32 s17, s16
	s_mov_b32 s18, s16
	;; [unrolled: 1-line block ×3, first 2 shown]
	s_nop 0
	global_store_dwordx4 v31, v[4:7], s[20:21]
	v_mov_b32_e32 v2, s16
	v_mov_b32_e32 v3, s17
	;; [unrolled: 1-line block ×4, first 2 shown]
	global_store_dwordx4 v31, v[2:5], s[20:21] offset:16
	global_store_dwordx4 v31, v[2:5], s[20:21] offset:32
	;; [unrolled: 1-line block ×3, first 2 shown]
	s_and_saveexec_b64 s[16:17], s[4:5]
	s_cbranch_execz .LBB6_1439
; %bb.1432:
	v_mov_b32_e32 v6, 0
	global_load_dwordx2 v[14:15], v6, s[6:7] offset:32 glc
	global_load_dwordx2 v[2:3], v6, s[6:7] offset:40
	v_mov_b32_e32 v12, s10
	v_mov_b32_e32 v13, s11
	s_waitcnt vmcnt(0)
	v_readfirstlane_b32 s18, v2
	v_readfirstlane_b32 s19, v3
	s_and_b64 s[18:19], s[18:19], s[10:11]
	s_mul_i32 s15, s19, 24
	s_mul_hi_u32 s19, s18, 24
	s_mul_i32 s18, s18, 24
	s_add_i32 s15, s19, s15
	v_mov_b32_e32 v2, s15
	v_add_co_u32_e32 v4, vcc, s18, v0
	v_addc_co_u32_e32 v5, vcc, v1, v2, vcc
	global_store_dwordx2 v[4:5], v[14:15], off
	s_waitcnt vmcnt(0)
	global_atomic_cmpswap_x2 v[2:3], v6, v[12:15], s[6:7] offset:32 glc
	s_waitcnt vmcnt(0)
	v_cmp_ne_u64_e32 vcc, v[2:3], v[14:15]
	s_and_saveexec_b64 s[18:19], vcc
	s_cbranch_execz .LBB6_1435
; %bb.1433:
	s_mov_b64 s[20:21], 0
.LBB6_1434:                             ; =>This Inner Loop Header: Depth=1
	s_sleep 1
	global_store_dwordx2 v[4:5], v[2:3], off
	v_mov_b32_e32 v0, s10
	v_mov_b32_e32 v1, s11
	s_waitcnt vmcnt(0)
	global_atomic_cmpswap_x2 v[0:1], v6, v[0:3], s[6:7] offset:32 glc
	s_waitcnt vmcnt(0)
	v_cmp_eq_u64_e32 vcc, v[0:1], v[2:3]
	v_mov_b32_e32 v3, v1
	s_or_b64 s[20:21], vcc, s[20:21]
	v_mov_b32_e32 v2, v0
	s_andn2_b64 exec, exec, s[20:21]
	s_cbranch_execnz .LBB6_1434
.LBB6_1435:
	s_or_b64 exec, exec, s[18:19]
	v_mov_b32_e32 v3, 0
	global_load_dwordx2 v[0:1], v3, s[6:7] offset:16
	s_mov_b64 s[18:19], exec
	v_mbcnt_lo_u32_b32 v2, s18, 0
	v_mbcnt_hi_u32_b32 v2, s19, v2
	v_cmp_eq_u32_e32 vcc, 0, v2
	s_and_saveexec_b64 s[20:21], vcc
	s_cbranch_execz .LBB6_1437
; %bb.1436:
	s_bcnt1_i32_b64 s15, s[18:19]
	v_mov_b32_e32 v2, s15
	s_waitcnt vmcnt(0)
	global_atomic_add_x2 v[0:1], v[2:3], off offset:8
.LBB6_1437:
	s_or_b64 exec, exec, s[20:21]
	s_waitcnt vmcnt(0)
	global_load_dwordx2 v[2:3], v[0:1], off offset:16
	s_waitcnt vmcnt(0)
	v_cmp_eq_u64_e32 vcc, 0, v[2:3]
	s_cbranch_vccnz .LBB6_1439
; %bb.1438:
	global_load_dword v0, v[0:1], off offset:24
	v_mov_b32_e32 v1, 0
	s_waitcnt vmcnt(0)
	global_store_dwordx2 v[2:3], v[0:1], off
	v_and_b32_e32 v0, 0xffffff, v0
	v_readfirstlane_b32 m0, v0
	s_sendmsg sendmsg(MSG_INTERRUPT)
.LBB6_1439:
	s_or_b64 exec, exec, s[16:17]
	s_branch .LBB6_1443
.LBB6_1440:                             ;   in Loop: Header=BB6_1443 Depth=1
	s_or_b64 exec, exec, s[16:17]
	v_readfirstlane_b32 s15, v0
	s_cmp_eq_u32 s15, 0
	s_cbranch_scc1 .LBB6_1442
; %bb.1441:                             ;   in Loop: Header=BB6_1443 Depth=1
	s_sleep 1
	s_cbranch_execnz .LBB6_1443
	s_branch .LBB6_1445
.LBB6_1442:
	s_branch .LBB6_1445
.LBB6_1443:                             ; =>This Inner Loop Header: Depth=1
	v_mov_b32_e32 v0, 1
	s_and_saveexec_b64 s[16:17], s[4:5]
	s_cbranch_execz .LBB6_1440
; %bb.1444:                             ;   in Loop: Header=BB6_1443 Depth=1
	global_load_dword v0, v[8:9], off offset:20 glc
	s_waitcnt vmcnt(0)
	buffer_wbinvl1_vol
	v_and_b32_e32 v0, 1, v0
	s_branch .LBB6_1440
.LBB6_1445:
	global_load_dwordx2 v[0:1], v[10:11], off
	s_and_saveexec_b64 s[16:17], s[4:5]
	s_cbranch_execz .LBB6_1448
; %bb.1446:
	v_mov_b32_e32 v8, 0
	global_load_dwordx2 v[4:5], v8, s[6:7] offset:40
	global_load_dwordx2 v[9:10], v8, s[6:7] offset:24 glc
	global_load_dwordx2 v[6:7], v8, s[6:7]
	v_mov_b32_e32 v3, s11
	s_mov_b64 s[4:5], 0
	s_waitcnt vmcnt(2)
	v_add_co_u32_e32 v11, vcc, 1, v4
	v_addc_co_u32_e32 v12, vcc, 0, v5, vcc
	v_add_co_u32_e32 v2, vcc, s10, v11
	v_addc_co_u32_e32 v3, vcc, v12, v3, vcc
	v_cmp_eq_u64_e32 vcc, 0, v[2:3]
	v_cndmask_b32_e32 v3, v3, v12, vcc
	v_cndmask_b32_e32 v2, v2, v11, vcc
	v_and_b32_e32 v5, v3, v5
	v_and_b32_e32 v4, v2, v4
	v_mul_lo_u32 v5, v5, 24
	v_mul_hi_u32 v11, v4, 24
	v_mul_lo_u32 v12, v4, 24
	s_waitcnt vmcnt(1)
	v_mov_b32_e32 v4, v9
	v_add_u32_e32 v5, v11, v5
	s_waitcnt vmcnt(0)
	v_add_co_u32_e32 v6, vcc, v6, v12
	v_addc_co_u32_e32 v7, vcc, v7, v5, vcc
	global_store_dwordx2 v[6:7], v[9:10], off
	v_mov_b32_e32 v5, v10
	s_waitcnt vmcnt(0)
	global_atomic_cmpswap_x2 v[4:5], v8, v[2:5], s[6:7] offset:24 glc
	s_waitcnt vmcnt(0)
	v_cmp_ne_u64_e32 vcc, v[4:5], v[9:10]
	s_and_b64 exec, exec, vcc
	s_cbranch_execz .LBB6_1448
.LBB6_1447:                             ; =>This Inner Loop Header: Depth=1
	s_sleep 1
	global_store_dwordx2 v[6:7], v[4:5], off
	s_waitcnt vmcnt(0)
	global_atomic_cmpswap_x2 v[9:10], v8, v[2:5], s[6:7] offset:24 glc
	s_waitcnt vmcnt(0)
	v_cmp_eq_u64_e32 vcc, v[9:10], v[4:5]
	v_mov_b32_e32 v4, v9
	s_or_b64 s[4:5], vcc, s[4:5]
	v_mov_b32_e32 v5, v10
	s_andn2_b64 exec, exec, s[4:5]
	s_cbranch_execnz .LBB6_1447
.LBB6_1448:
	s_or_b64 exec, exec, s[16:17]
.LBB6_1449:
	s_getpc_b64 s[10:11]
	s_add_u32 s10, s10, .str.2@rel32@lo+4
	s_addc_u32 s11, s11, .str.2@rel32@hi+12
	s_cmp_lg_u64 s[10:11], 0
	s_cbranch_scc0 .LBB6_1534
; %bb.1450:
	s_waitcnt vmcnt(0)
	v_and_b32_e32 v6, -3, v0
	v_mov_b32_e32 v7, v1
	s_mov_b64 s[16:17], 13
	v_mov_b32_e32 v26, 0
	v_mov_b32_e32 v4, 2
	;; [unrolled: 1-line block ×3, first 2 shown]
	s_branch .LBB6_1452
.LBB6_1451:                             ;   in Loop: Header=BB6_1452 Depth=1
	s_or_b64 exec, exec, s[22:23]
	s_sub_u32 s16, s16, s18
	s_subb_u32 s17, s17, s19
	s_add_u32 s10, s10, s18
	s_addc_u32 s11, s11, s19
	s_cmp_lg_u64 s[16:17], 0
	s_cbranch_scc0 .LBB6_1533
.LBB6_1452:                             ; =>This Loop Header: Depth=1
                                        ;     Child Loop BB6_1455 Depth 2
                                        ;     Child Loop BB6_1462 Depth 2
                                        ;     Child Loop BB6_1470 Depth 2
                                        ;     Child Loop BB6_1478 Depth 2
                                        ;     Child Loop BB6_1486 Depth 2
                                        ;     Child Loop BB6_1494 Depth 2
                                        ;     Child Loop BB6_1502 Depth 2
                                        ;     Child Loop BB6_1510 Depth 2
                                        ;     Child Loop BB6_1518 Depth 2
                                        ;     Child Loop BB6_1527 Depth 2
                                        ;     Child Loop BB6_1532 Depth 2
	v_cmp_lt_u64_e64 s[4:5], s[16:17], 56
	v_cmp_gt_u64_e64 s[20:21], s[16:17], 7
	s_and_b64 s[4:5], s[4:5], exec
	s_cselect_b32 s19, s17, 0
	s_cselect_b32 s18, s16, 56
	s_and_b64 vcc, exec, s[20:21]
	s_cbranch_vccnz .LBB6_1457
; %bb.1453:                             ;   in Loop: Header=BB6_1452 Depth=1
	s_waitcnt vmcnt(0)
	v_mov_b32_e32 v8, 0
	s_cmp_eq_u64 s[16:17], 0
	v_mov_b32_e32 v9, 0
	s_mov_b64 s[4:5], 0
	s_cbranch_scc1 .LBB6_1456
; %bb.1454:                             ;   in Loop: Header=BB6_1452 Depth=1
	v_mov_b32_e32 v8, 0
	s_lshl_b64 s[20:21], s[18:19], 3
	s_mov_b64 s[22:23], 0
	v_mov_b32_e32 v9, 0
	s_mov_b64 s[24:25], s[10:11]
.LBB6_1455:                             ;   Parent Loop BB6_1452 Depth=1
                                        ; =>  This Inner Loop Header: Depth=2
	global_load_ubyte v2, v26, s[24:25]
	s_waitcnt vmcnt(0)
	v_and_b32_e32 v25, 0xffff, v2
	v_lshlrev_b64 v[2:3], s22, v[25:26]
	s_add_u32 s22, s22, 8
	s_addc_u32 s23, s23, 0
	s_add_u32 s24, s24, 1
	s_addc_u32 s25, s25, 0
	v_or_b32_e32 v8, v2, v8
	s_cmp_lg_u32 s20, s22
	v_or_b32_e32 v9, v3, v9
	s_cbranch_scc1 .LBB6_1455
.LBB6_1456:                             ;   in Loop: Header=BB6_1452 Depth=1
	s_mov_b32 s15, 0
	s_andn2_b64 vcc, exec, s[4:5]
	s_mov_b64 s[4:5], s[10:11]
	s_cbranch_vccz .LBB6_1458
	s_branch .LBB6_1459
.LBB6_1457:                             ;   in Loop: Header=BB6_1452 Depth=1
                                        ; implicit-def: $sgpr15
	s_mov_b64 s[4:5], s[10:11]
.LBB6_1458:                             ;   in Loop: Header=BB6_1452 Depth=1
	global_load_dwordx2 v[8:9], v26, s[10:11]
	s_add_i32 s15, s18, -8
	s_add_u32 s4, s10, 8
	s_addc_u32 s5, s11, 0
.LBB6_1459:                             ;   in Loop: Header=BB6_1452 Depth=1
	s_cmp_gt_u32 s15, 7
	s_cbranch_scc1 .LBB6_1463
; %bb.1460:                             ;   in Loop: Header=BB6_1452 Depth=1
	s_cmp_eq_u32 s15, 0
	s_cbranch_scc1 .LBB6_1464
; %bb.1461:                             ;   in Loop: Header=BB6_1452 Depth=1
	v_mov_b32_e32 v10, 0
	s_mov_b64 s[20:21], 0
	v_mov_b32_e32 v11, 0
	s_mov_b64 s[22:23], 0
.LBB6_1462:                             ;   Parent Loop BB6_1452 Depth=1
                                        ; =>  This Inner Loop Header: Depth=2
	s_add_u32 s24, s4, s22
	s_addc_u32 s25, s5, s23
	global_load_ubyte v2, v26, s[24:25]
	s_add_u32 s22, s22, 1
	s_addc_u32 s23, s23, 0
	s_waitcnt vmcnt(0)
	v_and_b32_e32 v25, 0xffff, v2
	v_lshlrev_b64 v[2:3], s20, v[25:26]
	s_add_u32 s20, s20, 8
	s_addc_u32 s21, s21, 0
	v_or_b32_e32 v10, v2, v10
	s_cmp_lg_u32 s15, s22
	v_or_b32_e32 v11, v3, v11
	s_cbranch_scc1 .LBB6_1462
	s_branch .LBB6_1465
.LBB6_1463:                             ;   in Loop: Header=BB6_1452 Depth=1
                                        ; implicit-def: $vgpr10_vgpr11
                                        ; implicit-def: $sgpr24
	s_branch .LBB6_1466
.LBB6_1464:                             ;   in Loop: Header=BB6_1452 Depth=1
	v_mov_b32_e32 v10, 0
	v_mov_b32_e32 v11, 0
.LBB6_1465:                             ;   in Loop: Header=BB6_1452 Depth=1
	s_mov_b32 s24, 0
	s_cbranch_execnz .LBB6_1467
.LBB6_1466:                             ;   in Loop: Header=BB6_1452 Depth=1
	global_load_dwordx2 v[10:11], v26, s[4:5]
	s_add_i32 s24, s15, -8
	s_add_u32 s4, s4, 8
	s_addc_u32 s5, s5, 0
.LBB6_1467:                             ;   in Loop: Header=BB6_1452 Depth=1
	s_cmp_gt_u32 s24, 7
	s_cbranch_scc1 .LBB6_1471
; %bb.1468:                             ;   in Loop: Header=BB6_1452 Depth=1
	s_cmp_eq_u32 s24, 0
	s_cbranch_scc1 .LBB6_1472
; %bb.1469:                             ;   in Loop: Header=BB6_1452 Depth=1
	v_mov_b32_e32 v12, 0
	s_mov_b64 s[20:21], 0
	v_mov_b32_e32 v13, 0
	s_mov_b64 s[22:23], 0
.LBB6_1470:                             ;   Parent Loop BB6_1452 Depth=1
                                        ; =>  This Inner Loop Header: Depth=2
	s_add_u32 s26, s4, s22
	s_addc_u32 s27, s5, s23
	global_load_ubyte v2, v26, s[26:27]
	s_add_u32 s22, s22, 1
	s_addc_u32 s23, s23, 0
	s_waitcnt vmcnt(0)
	v_and_b32_e32 v25, 0xffff, v2
	v_lshlrev_b64 v[2:3], s20, v[25:26]
	s_add_u32 s20, s20, 8
	s_addc_u32 s21, s21, 0
	v_or_b32_e32 v12, v2, v12
	s_cmp_lg_u32 s24, s22
	v_or_b32_e32 v13, v3, v13
	s_cbranch_scc1 .LBB6_1470
	s_branch .LBB6_1473
.LBB6_1471:                             ;   in Loop: Header=BB6_1452 Depth=1
                                        ; implicit-def: $sgpr15
	s_branch .LBB6_1474
.LBB6_1472:                             ;   in Loop: Header=BB6_1452 Depth=1
	v_mov_b32_e32 v12, 0
	v_mov_b32_e32 v13, 0
.LBB6_1473:                             ;   in Loop: Header=BB6_1452 Depth=1
	s_mov_b32 s15, 0
	s_cbranch_execnz .LBB6_1475
.LBB6_1474:                             ;   in Loop: Header=BB6_1452 Depth=1
	global_load_dwordx2 v[12:13], v26, s[4:5]
	s_add_i32 s15, s24, -8
	s_add_u32 s4, s4, 8
	s_addc_u32 s5, s5, 0
.LBB6_1475:                             ;   in Loop: Header=BB6_1452 Depth=1
	s_cmp_gt_u32 s15, 7
	s_cbranch_scc1 .LBB6_1479
; %bb.1476:                             ;   in Loop: Header=BB6_1452 Depth=1
	s_cmp_eq_u32 s15, 0
	s_cbranch_scc1 .LBB6_1480
; %bb.1477:                             ;   in Loop: Header=BB6_1452 Depth=1
	v_mov_b32_e32 v14, 0
	s_mov_b64 s[20:21], 0
	v_mov_b32_e32 v15, 0
	s_mov_b64 s[22:23], 0
.LBB6_1478:                             ;   Parent Loop BB6_1452 Depth=1
                                        ; =>  This Inner Loop Header: Depth=2
	s_add_u32 s24, s4, s22
	s_addc_u32 s25, s5, s23
	global_load_ubyte v2, v26, s[24:25]
	s_add_u32 s22, s22, 1
	s_addc_u32 s23, s23, 0
	s_waitcnt vmcnt(0)
	v_and_b32_e32 v25, 0xffff, v2
	v_lshlrev_b64 v[2:3], s20, v[25:26]
	s_add_u32 s20, s20, 8
	s_addc_u32 s21, s21, 0
	v_or_b32_e32 v14, v2, v14
	s_cmp_lg_u32 s15, s22
	v_or_b32_e32 v15, v3, v15
	s_cbranch_scc1 .LBB6_1478
	s_branch .LBB6_1481
.LBB6_1479:                             ;   in Loop: Header=BB6_1452 Depth=1
                                        ; implicit-def: $vgpr14_vgpr15
                                        ; implicit-def: $sgpr24
	s_branch .LBB6_1482
.LBB6_1480:                             ;   in Loop: Header=BB6_1452 Depth=1
	v_mov_b32_e32 v14, 0
	v_mov_b32_e32 v15, 0
.LBB6_1481:                             ;   in Loop: Header=BB6_1452 Depth=1
	s_mov_b32 s24, 0
	s_cbranch_execnz .LBB6_1483
.LBB6_1482:                             ;   in Loop: Header=BB6_1452 Depth=1
	global_load_dwordx2 v[14:15], v26, s[4:5]
	s_add_i32 s24, s15, -8
	s_add_u32 s4, s4, 8
	s_addc_u32 s5, s5, 0
.LBB6_1483:                             ;   in Loop: Header=BB6_1452 Depth=1
	s_cmp_gt_u32 s24, 7
	s_cbranch_scc1 .LBB6_1487
; %bb.1484:                             ;   in Loop: Header=BB6_1452 Depth=1
	s_cmp_eq_u32 s24, 0
	s_cbranch_scc1 .LBB6_1488
; %bb.1485:                             ;   in Loop: Header=BB6_1452 Depth=1
	v_mov_b32_e32 v16, 0
	s_mov_b64 s[20:21], 0
	v_mov_b32_e32 v17, 0
	s_mov_b64 s[22:23], 0
.LBB6_1486:                             ;   Parent Loop BB6_1452 Depth=1
                                        ; =>  This Inner Loop Header: Depth=2
	s_add_u32 s26, s4, s22
	s_addc_u32 s27, s5, s23
	global_load_ubyte v2, v26, s[26:27]
	s_add_u32 s22, s22, 1
	s_addc_u32 s23, s23, 0
	s_waitcnt vmcnt(0)
	v_and_b32_e32 v25, 0xffff, v2
	v_lshlrev_b64 v[2:3], s20, v[25:26]
	s_add_u32 s20, s20, 8
	s_addc_u32 s21, s21, 0
	v_or_b32_e32 v16, v2, v16
	s_cmp_lg_u32 s24, s22
	v_or_b32_e32 v17, v3, v17
	s_cbranch_scc1 .LBB6_1486
	s_branch .LBB6_1489
.LBB6_1487:                             ;   in Loop: Header=BB6_1452 Depth=1
                                        ; implicit-def: $sgpr15
	s_branch .LBB6_1490
.LBB6_1488:                             ;   in Loop: Header=BB6_1452 Depth=1
	v_mov_b32_e32 v16, 0
	v_mov_b32_e32 v17, 0
.LBB6_1489:                             ;   in Loop: Header=BB6_1452 Depth=1
	s_mov_b32 s15, 0
	s_cbranch_execnz .LBB6_1491
.LBB6_1490:                             ;   in Loop: Header=BB6_1452 Depth=1
	global_load_dwordx2 v[16:17], v26, s[4:5]
	s_add_i32 s15, s24, -8
	s_add_u32 s4, s4, 8
	s_addc_u32 s5, s5, 0
.LBB6_1491:                             ;   in Loop: Header=BB6_1452 Depth=1
	s_cmp_gt_u32 s15, 7
	s_cbranch_scc1 .LBB6_1495
; %bb.1492:                             ;   in Loop: Header=BB6_1452 Depth=1
	s_cmp_eq_u32 s15, 0
	s_cbranch_scc1 .LBB6_1496
; %bb.1493:                             ;   in Loop: Header=BB6_1452 Depth=1
	v_mov_b32_e32 v18, 0
	s_mov_b64 s[20:21], 0
	v_mov_b32_e32 v19, 0
	s_mov_b64 s[22:23], 0
.LBB6_1494:                             ;   Parent Loop BB6_1452 Depth=1
                                        ; =>  This Inner Loop Header: Depth=2
	s_add_u32 s24, s4, s22
	s_addc_u32 s25, s5, s23
	global_load_ubyte v2, v26, s[24:25]
	s_add_u32 s22, s22, 1
	s_addc_u32 s23, s23, 0
	s_waitcnt vmcnt(0)
	v_and_b32_e32 v25, 0xffff, v2
	v_lshlrev_b64 v[2:3], s20, v[25:26]
	s_add_u32 s20, s20, 8
	s_addc_u32 s21, s21, 0
	v_or_b32_e32 v18, v2, v18
	s_cmp_lg_u32 s15, s22
	v_or_b32_e32 v19, v3, v19
	s_cbranch_scc1 .LBB6_1494
	s_branch .LBB6_1497
.LBB6_1495:                             ;   in Loop: Header=BB6_1452 Depth=1
                                        ; implicit-def: $vgpr18_vgpr19
                                        ; implicit-def: $sgpr24
	s_branch .LBB6_1498
.LBB6_1496:                             ;   in Loop: Header=BB6_1452 Depth=1
	v_mov_b32_e32 v18, 0
	v_mov_b32_e32 v19, 0
.LBB6_1497:                             ;   in Loop: Header=BB6_1452 Depth=1
	s_mov_b32 s24, 0
	s_cbranch_execnz .LBB6_1499
.LBB6_1498:                             ;   in Loop: Header=BB6_1452 Depth=1
	global_load_dwordx2 v[18:19], v26, s[4:5]
	s_add_i32 s24, s15, -8
	s_add_u32 s4, s4, 8
	s_addc_u32 s5, s5, 0
.LBB6_1499:                             ;   in Loop: Header=BB6_1452 Depth=1
	s_cmp_gt_u32 s24, 7
	s_cbranch_scc1 .LBB6_1503
; %bb.1500:                             ;   in Loop: Header=BB6_1452 Depth=1
	s_cmp_eq_u32 s24, 0
	s_cbranch_scc1 .LBB6_1504
; %bb.1501:                             ;   in Loop: Header=BB6_1452 Depth=1
	v_mov_b32_e32 v20, 0
	s_mov_b64 s[20:21], 0
	v_mov_b32_e32 v21, 0
	s_mov_b64 s[22:23], s[4:5]
.LBB6_1502:                             ;   Parent Loop BB6_1452 Depth=1
                                        ; =>  This Inner Loop Header: Depth=2
	global_load_ubyte v2, v26, s[22:23]
	s_add_i32 s24, s24, -1
	s_waitcnt vmcnt(0)
	v_and_b32_e32 v25, 0xffff, v2
	v_lshlrev_b64 v[2:3], s20, v[25:26]
	s_add_u32 s20, s20, 8
	s_addc_u32 s21, s21, 0
	s_add_u32 s22, s22, 1
	s_addc_u32 s23, s23, 0
	v_or_b32_e32 v20, v2, v20
	s_cmp_lg_u32 s24, 0
	v_or_b32_e32 v21, v3, v21
	s_cbranch_scc1 .LBB6_1502
	s_branch .LBB6_1505
.LBB6_1503:                             ;   in Loop: Header=BB6_1452 Depth=1
	s_branch .LBB6_1506
.LBB6_1504:                             ;   in Loop: Header=BB6_1452 Depth=1
	v_mov_b32_e32 v20, 0
	v_mov_b32_e32 v21, 0
.LBB6_1505:                             ;   in Loop: Header=BB6_1452 Depth=1
	s_cbranch_execnz .LBB6_1507
.LBB6_1506:                             ;   in Loop: Header=BB6_1452 Depth=1
	global_load_dwordx2 v[20:21], v26, s[4:5]
.LBB6_1507:                             ;   in Loop: Header=BB6_1452 Depth=1
	v_readfirstlane_b32 s4, v32
	v_mov_b32_e32 v2, 0
	v_mov_b32_e32 v3, 0
	v_cmp_eq_u32_e64 s[4:5], s4, v32
	s_and_saveexec_b64 s[20:21], s[4:5]
	s_cbranch_execz .LBB6_1513
; %bb.1508:                             ;   in Loop: Header=BB6_1452 Depth=1
	global_load_dwordx2 v[24:25], v26, s[6:7] offset:24 glc
	s_waitcnt vmcnt(0)
	buffer_wbinvl1_vol
	global_load_dwordx2 v[2:3], v26, s[6:7] offset:40
	global_load_dwordx2 v[22:23], v26, s[6:7]
	s_waitcnt vmcnt(1)
	v_and_b32_e32 v2, v2, v24
	v_and_b32_e32 v3, v3, v25
	v_mul_lo_u32 v3, v3, 24
	v_mul_hi_u32 v27, v2, 24
	v_mul_lo_u32 v2, v2, 24
	v_add_u32_e32 v3, v27, v3
	s_waitcnt vmcnt(0)
	v_add_co_u32_e32 v2, vcc, v22, v2
	v_addc_co_u32_e32 v3, vcc, v23, v3, vcc
	global_load_dwordx2 v[22:23], v[2:3], off glc
	s_waitcnt vmcnt(0)
	global_atomic_cmpswap_x2 v[2:3], v26, v[22:25], s[6:7] offset:24 glc
	s_waitcnt vmcnt(0)
	buffer_wbinvl1_vol
	v_cmp_ne_u64_e32 vcc, v[2:3], v[24:25]
	s_and_saveexec_b64 s[22:23], vcc
	s_cbranch_execz .LBB6_1512
; %bb.1509:                             ;   in Loop: Header=BB6_1452 Depth=1
	s_mov_b64 s[24:25], 0
.LBB6_1510:                             ;   Parent Loop BB6_1452 Depth=1
                                        ; =>  This Inner Loop Header: Depth=2
	s_sleep 1
	global_load_dwordx2 v[22:23], v26, s[6:7] offset:40
	global_load_dwordx2 v[27:28], v26, s[6:7]
	v_mov_b32_e32 v25, v3
	v_mov_b32_e32 v24, v2
	s_waitcnt vmcnt(1)
	v_and_b32_e32 v2, v22, v24
	s_waitcnt vmcnt(0)
	v_mad_u64_u32 v[2:3], s[26:27], v2, 24, v[27:28]
	v_and_b32_e32 v22, v23, v25
	v_mad_u64_u32 v[22:23], s[26:27], v22, 24, v[3:4]
	v_mov_b32_e32 v3, v22
	global_load_dwordx2 v[22:23], v[2:3], off glc
	s_waitcnt vmcnt(0)
	global_atomic_cmpswap_x2 v[2:3], v26, v[22:25], s[6:7] offset:24 glc
	s_waitcnt vmcnt(0)
	buffer_wbinvl1_vol
	v_cmp_eq_u64_e32 vcc, v[2:3], v[24:25]
	s_or_b64 s[24:25], vcc, s[24:25]
	s_andn2_b64 exec, exec, s[24:25]
	s_cbranch_execnz .LBB6_1510
; %bb.1511:                             ;   in Loop: Header=BB6_1452 Depth=1
	s_or_b64 exec, exec, s[24:25]
.LBB6_1512:                             ;   in Loop: Header=BB6_1452 Depth=1
	s_or_b64 exec, exec, s[22:23]
.LBB6_1513:                             ;   in Loop: Header=BB6_1452 Depth=1
	s_or_b64 exec, exec, s[20:21]
	global_load_dwordx2 v[27:28], v26, s[6:7] offset:40
	global_load_dwordx4 v[22:25], v26, s[6:7]
	v_readfirstlane_b32 s20, v2
	v_readfirstlane_b32 s21, v3
	s_mov_b64 s[22:23], exec
	s_waitcnt vmcnt(1)
	v_readfirstlane_b32 s24, v27
	v_readfirstlane_b32 s25, v28
	s_and_b64 s[24:25], s[20:21], s[24:25]
	s_mul_i32 s15, s25, 24
	s_mul_hi_u32 s26, s24, 24
	s_mul_i32 s27, s24, 24
	s_add_i32 s15, s26, s15
	v_mov_b32_e32 v2, s15
	s_waitcnt vmcnt(0)
	v_add_co_u32_e32 v27, vcc, s27, v22
	v_addc_co_u32_e32 v28, vcc, v23, v2, vcc
	s_and_saveexec_b64 s[26:27], s[4:5]
	s_cbranch_execz .LBB6_1515
; %bb.1514:                             ;   in Loop: Header=BB6_1452 Depth=1
	v_mov_b32_e32 v2, s22
	v_mov_b32_e32 v3, s23
	global_store_dwordx4 v[27:28], v[2:5], off offset:8
.LBB6_1515:                             ;   in Loop: Header=BB6_1452 Depth=1
	s_or_b64 exec, exec, s[26:27]
	s_lshl_b64 s[22:23], s[24:25], 12
	v_mov_b32_e32 v2, s23
	v_add_co_u32_e32 v24, vcc, s22, v24
	v_addc_co_u32_e32 v29, vcc, v25, v2, vcc
	v_cmp_gt_u64_e64 vcc, s[16:17], 56
	v_or_b32_e32 v2, 2, v6
	s_lshl_b32 s15, s18, 2
	v_cndmask_b32_e32 v2, v2, v6, vcc
	s_add_i32 s15, s15, 28
	s_and_b32 s15, s15, 0x1e0
	v_and_b32_e32 v2, 0xffffff1f, v2
	v_or_b32_e32 v6, s15, v2
	v_readfirstlane_b32 s22, v24
	v_readfirstlane_b32 s23, v29
	s_nop 4
	global_store_dwordx4 v31, v[6:9], s[22:23]
	global_store_dwordx4 v31, v[10:13], s[22:23] offset:16
	global_store_dwordx4 v31, v[14:17], s[22:23] offset:32
	;; [unrolled: 1-line block ×3, first 2 shown]
	s_and_saveexec_b64 s[22:23], s[4:5]
	s_cbranch_execz .LBB6_1523
; %bb.1516:                             ;   in Loop: Header=BB6_1452 Depth=1
	global_load_dwordx2 v[10:11], v26, s[6:7] offset:32 glc
	global_load_dwordx2 v[2:3], v26, s[6:7] offset:40
	v_mov_b32_e32 v8, s20
	v_mov_b32_e32 v9, s21
	s_waitcnt vmcnt(0)
	v_readfirstlane_b32 s24, v2
	v_readfirstlane_b32 s25, v3
	s_and_b64 s[24:25], s[24:25], s[20:21]
	s_mul_i32 s15, s25, 24
	s_mul_hi_u32 s25, s24, 24
	s_mul_i32 s24, s24, 24
	s_add_i32 s15, s25, s15
	v_mov_b32_e32 v3, s15
	v_add_co_u32_e32 v2, vcc, s24, v22
	v_addc_co_u32_e32 v3, vcc, v23, v3, vcc
	global_store_dwordx2 v[2:3], v[10:11], off
	s_waitcnt vmcnt(0)
	global_atomic_cmpswap_x2 v[8:9], v26, v[8:11], s[6:7] offset:32 glc
	s_waitcnt vmcnt(0)
	v_cmp_ne_u64_e32 vcc, v[8:9], v[10:11]
	s_and_saveexec_b64 s[24:25], vcc
	s_cbranch_execz .LBB6_1519
; %bb.1517:                             ;   in Loop: Header=BB6_1452 Depth=1
	s_mov_b64 s[26:27], 0
.LBB6_1518:                             ;   Parent Loop BB6_1452 Depth=1
                                        ; =>  This Inner Loop Header: Depth=2
	s_sleep 1
	global_store_dwordx2 v[2:3], v[8:9], off
	v_mov_b32_e32 v6, s20
	v_mov_b32_e32 v7, s21
	s_waitcnt vmcnt(0)
	global_atomic_cmpswap_x2 v[6:7], v26, v[6:9], s[6:7] offset:32 glc
	s_waitcnt vmcnt(0)
	v_cmp_eq_u64_e32 vcc, v[6:7], v[8:9]
	v_mov_b32_e32 v9, v7
	s_or_b64 s[26:27], vcc, s[26:27]
	v_mov_b32_e32 v8, v6
	s_andn2_b64 exec, exec, s[26:27]
	s_cbranch_execnz .LBB6_1518
.LBB6_1519:                             ;   in Loop: Header=BB6_1452 Depth=1
	s_or_b64 exec, exec, s[24:25]
	global_load_dwordx2 v[2:3], v26, s[6:7] offset:16
	s_mov_b64 s[26:27], exec
	v_mbcnt_lo_u32_b32 v6, s26, 0
	v_mbcnt_hi_u32_b32 v6, s27, v6
	v_cmp_eq_u32_e32 vcc, 0, v6
	s_and_saveexec_b64 s[24:25], vcc
	s_cbranch_execz .LBB6_1521
; %bb.1520:                             ;   in Loop: Header=BB6_1452 Depth=1
	s_bcnt1_i32_b64 s15, s[26:27]
	v_mov_b32_e32 v25, s15
	s_waitcnt vmcnt(0)
	global_atomic_add_x2 v[2:3], v[25:26], off offset:8
.LBB6_1521:                             ;   in Loop: Header=BB6_1452 Depth=1
	s_or_b64 exec, exec, s[24:25]
	s_waitcnt vmcnt(0)
	global_load_dwordx2 v[6:7], v[2:3], off offset:16
	s_waitcnt vmcnt(0)
	v_cmp_eq_u64_e32 vcc, 0, v[6:7]
	s_cbranch_vccnz .LBB6_1523
; %bb.1522:                             ;   in Loop: Header=BB6_1452 Depth=1
	global_load_dword v25, v[2:3], off offset:24
	s_waitcnt vmcnt(0)
	v_and_b32_e32 v2, 0xffffff, v25
	v_readfirstlane_b32 m0, v2
	global_store_dwordx2 v[6:7], v[25:26], off
	s_sendmsg sendmsg(MSG_INTERRUPT)
.LBB6_1523:                             ;   in Loop: Header=BB6_1452 Depth=1
	s_or_b64 exec, exec, s[22:23]
	v_add_co_u32_e32 v2, vcc, v24, v31
	v_addc_co_u32_e32 v3, vcc, 0, v29, vcc
	s_branch .LBB6_1527
.LBB6_1524:                             ;   in Loop: Header=BB6_1527 Depth=2
	s_or_b64 exec, exec, s[22:23]
	v_readfirstlane_b32 s15, v6
	s_cmp_eq_u32 s15, 0
	s_cbranch_scc1 .LBB6_1526
; %bb.1525:                             ;   in Loop: Header=BB6_1527 Depth=2
	s_sleep 1
	s_cbranch_execnz .LBB6_1527
	s_branch .LBB6_1529
.LBB6_1526:                             ;   in Loop: Header=BB6_1452 Depth=1
	s_branch .LBB6_1529
.LBB6_1527:                             ;   Parent Loop BB6_1452 Depth=1
                                        ; =>  This Inner Loop Header: Depth=2
	v_mov_b32_e32 v6, 1
	s_and_saveexec_b64 s[22:23], s[4:5]
	s_cbranch_execz .LBB6_1524
; %bb.1528:                             ;   in Loop: Header=BB6_1527 Depth=2
	global_load_dword v6, v[27:28], off offset:20 glc
	s_waitcnt vmcnt(0)
	buffer_wbinvl1_vol
	v_and_b32_e32 v6, 1, v6
	s_branch .LBB6_1524
.LBB6_1529:                             ;   in Loop: Header=BB6_1452 Depth=1
	global_load_dwordx4 v[6:9], v[2:3], off
	s_and_saveexec_b64 s[22:23], s[4:5]
	s_cbranch_execz .LBB6_1451
; %bb.1530:                             ;   in Loop: Header=BB6_1452 Depth=1
	global_load_dwordx2 v[2:3], v26, s[6:7] offset:40
	global_load_dwordx2 v[12:13], v26, s[6:7] offset:24 glc
	global_load_dwordx2 v[14:15], v26, s[6:7]
	s_waitcnt vmcnt(3)
	v_mov_b32_e32 v9, s21
	s_waitcnt vmcnt(2)
	v_add_co_u32_e32 v10, vcc, 1, v2
	v_addc_co_u32_e32 v11, vcc, 0, v3, vcc
	v_add_co_u32_e32 v8, vcc, s20, v10
	v_addc_co_u32_e32 v9, vcc, v11, v9, vcc
	v_cmp_eq_u64_e32 vcc, 0, v[8:9]
	v_cndmask_b32_e32 v9, v9, v11, vcc
	v_cndmask_b32_e32 v8, v8, v10, vcc
	v_and_b32_e32 v3, v9, v3
	v_and_b32_e32 v2, v8, v2
	v_mul_lo_u32 v3, v3, 24
	v_mul_hi_u32 v11, v2, 24
	v_mul_lo_u32 v2, v2, 24
	s_waitcnt vmcnt(1)
	v_mov_b32_e32 v10, v12
	v_add_u32_e32 v3, v11, v3
	s_waitcnt vmcnt(0)
	v_add_co_u32_e32 v2, vcc, v14, v2
	v_addc_co_u32_e32 v3, vcc, v15, v3, vcc
	global_store_dwordx2 v[2:3], v[12:13], off
	v_mov_b32_e32 v11, v13
	s_waitcnt vmcnt(0)
	global_atomic_cmpswap_x2 v[10:11], v26, v[8:11], s[6:7] offset:24 glc
	s_waitcnt vmcnt(0)
	v_cmp_ne_u64_e32 vcc, v[10:11], v[12:13]
	s_and_b64 exec, exec, vcc
	s_cbranch_execz .LBB6_1451
; %bb.1531:                             ;   in Loop: Header=BB6_1452 Depth=1
	s_mov_b64 s[4:5], 0
.LBB6_1532:                             ;   Parent Loop BB6_1452 Depth=1
                                        ; =>  This Inner Loop Header: Depth=2
	s_sleep 1
	global_store_dwordx2 v[2:3], v[10:11], off
	s_waitcnt vmcnt(0)
	global_atomic_cmpswap_x2 v[12:13], v26, v[8:11], s[6:7] offset:24 glc
	s_waitcnt vmcnt(0)
	v_cmp_eq_u64_e32 vcc, v[12:13], v[10:11]
	v_mov_b32_e32 v10, v12
	s_or_b64 s[4:5], vcc, s[4:5]
	v_mov_b32_e32 v11, v13
	s_andn2_b64 exec, exec, s[4:5]
	s_cbranch_execnz .LBB6_1532
	s_branch .LBB6_1451
.LBB6_1533:
	s_mov_b64 s[4:5], 0
	s_branch .LBB6_1535
.LBB6_1534:
	s_mov_b64 s[4:5], -1
.LBB6_1535:
	s_mov_b32 s41, s12
	s_mov_b32 s48, s13
	;; [unrolled: 1-line block ×3, first 2 shown]
	s_and_b64 vcc, exec, s[4:5]
	s_cbranch_vccz .LBB6_1562
; %bb.1536:
	v_readfirstlane_b32 s4, v32
	s_waitcnt vmcnt(0)
	v_mov_b32_e32 v8, 0
	v_mov_b32_e32 v9, 0
	v_cmp_eq_u32_e64 s[4:5], s4, v32
	s_and_saveexec_b64 s[10:11], s[4:5]
	s_cbranch_execz .LBB6_1542
; %bb.1537:
	v_mov_b32_e32 v2, 0
	global_load_dwordx2 v[5:6], v2, s[6:7] offset:24 glc
	s_waitcnt vmcnt(0)
	buffer_wbinvl1_vol
	global_load_dwordx2 v[3:4], v2, s[6:7] offset:40
	global_load_dwordx2 v[7:8], v2, s[6:7]
	s_waitcnt vmcnt(1)
	v_and_b32_e32 v3, v3, v5
	v_and_b32_e32 v4, v4, v6
	v_mul_lo_u32 v4, v4, 24
	v_mul_hi_u32 v9, v3, 24
	v_mul_lo_u32 v3, v3, 24
	v_add_u32_e32 v4, v9, v4
	s_waitcnt vmcnt(0)
	v_add_co_u32_e32 v3, vcc, v7, v3
	v_addc_co_u32_e32 v4, vcc, v8, v4, vcc
	global_load_dwordx2 v[3:4], v[3:4], off glc
	s_waitcnt vmcnt(0)
	global_atomic_cmpswap_x2 v[8:9], v2, v[3:6], s[6:7] offset:24 glc
	s_waitcnt vmcnt(0)
	buffer_wbinvl1_vol
	v_cmp_ne_u64_e32 vcc, v[8:9], v[5:6]
	s_and_saveexec_b64 s[12:13], vcc
	s_cbranch_execz .LBB6_1541
; %bb.1538:
	s_mov_b64 s[14:15], 0
.LBB6_1539:                             ; =>This Inner Loop Header: Depth=1
	s_sleep 1
	global_load_dwordx2 v[3:4], v2, s[6:7] offset:40
	global_load_dwordx2 v[10:11], v2, s[6:7]
	v_mov_b32_e32 v5, v8
	v_mov_b32_e32 v6, v9
	s_waitcnt vmcnt(1)
	v_and_b32_e32 v3, v3, v5
	s_waitcnt vmcnt(0)
	v_mad_u64_u32 v[7:8], s[16:17], v3, 24, v[10:11]
	v_and_b32_e32 v4, v4, v6
	v_mov_b32_e32 v3, v8
	v_mad_u64_u32 v[3:4], s[16:17], v4, 24, v[3:4]
	v_mov_b32_e32 v8, v3
	global_load_dwordx2 v[3:4], v[7:8], off glc
	s_waitcnt vmcnt(0)
	global_atomic_cmpswap_x2 v[8:9], v2, v[3:6], s[6:7] offset:24 glc
	s_waitcnt vmcnt(0)
	buffer_wbinvl1_vol
	v_cmp_eq_u64_e32 vcc, v[8:9], v[5:6]
	s_or_b64 s[14:15], vcc, s[14:15]
	s_andn2_b64 exec, exec, s[14:15]
	s_cbranch_execnz .LBB6_1539
; %bb.1540:
	s_or_b64 exec, exec, s[14:15]
.LBB6_1541:
	s_or_b64 exec, exec, s[12:13]
.LBB6_1542:
	s_or_b64 exec, exec, s[10:11]
	v_mov_b32_e32 v2, 0
	global_load_dwordx2 v[10:11], v2, s[6:7] offset:40
	global_load_dwordx4 v[4:7], v2, s[6:7]
	v_readfirstlane_b32 s10, v8
	v_readfirstlane_b32 s11, v9
	s_mov_b64 s[12:13], exec
	s_waitcnt vmcnt(1)
	v_readfirstlane_b32 s14, v10
	v_readfirstlane_b32 s15, v11
	s_and_b64 s[14:15], s[10:11], s[14:15]
	s_mul_i32 s16, s15, 24
	s_mul_hi_u32 s17, s14, 24
	s_mul_i32 s18, s14, 24
	s_add_i32 s16, s17, s16
	v_mov_b32_e32 v3, s16
	s_waitcnt vmcnt(0)
	v_add_co_u32_e32 v8, vcc, s18, v4
	v_addc_co_u32_e32 v9, vcc, v5, v3, vcc
	s_and_saveexec_b64 s[16:17], s[4:5]
	s_cbranch_execz .LBB6_1544
; %bb.1543:
	v_mov_b32_e32 v10, s12
	v_mov_b32_e32 v11, s13
	;; [unrolled: 1-line block ×4, first 2 shown]
	global_store_dwordx4 v[8:9], v[10:13], off offset:8
.LBB6_1544:
	s_or_b64 exec, exec, s[16:17]
	s_lshl_b64 s[12:13], s[14:15], 12
	v_mov_b32_e32 v3, s13
	v_add_co_u32_e32 v6, vcc, s12, v6
	v_addc_co_u32_e32 v7, vcc, v7, v3, vcc
	s_movk_i32 s12, 0xff1d
	v_and_or_b32 v0, v0, s12, 34
	s_mov_b32 s12, 0
	v_mov_b32_e32 v3, v2
	v_readfirstlane_b32 s16, v6
	v_readfirstlane_b32 s17, v7
	s_mov_b32 s13, s12
	s_mov_b32 s14, s12
	;; [unrolled: 1-line block ×3, first 2 shown]
	s_nop 1
	global_store_dwordx4 v31, v[0:3], s[16:17]
	s_nop 0
	v_mov_b32_e32 v0, s12
	v_mov_b32_e32 v1, s13
	;; [unrolled: 1-line block ×4, first 2 shown]
	global_store_dwordx4 v31, v[0:3], s[16:17] offset:16
	global_store_dwordx4 v31, v[0:3], s[16:17] offset:32
	;; [unrolled: 1-line block ×3, first 2 shown]
	s_and_saveexec_b64 s[12:13], s[4:5]
	s_cbranch_execz .LBB6_1552
; %bb.1545:
	v_mov_b32_e32 v6, 0
	global_load_dwordx2 v[12:13], v6, s[6:7] offset:32 glc
	global_load_dwordx2 v[0:1], v6, s[6:7] offset:40
	v_mov_b32_e32 v10, s10
	v_mov_b32_e32 v11, s11
	s_waitcnt vmcnt(0)
	v_readfirstlane_b32 s14, v0
	v_readfirstlane_b32 s15, v1
	s_and_b64 s[14:15], s[14:15], s[10:11]
	s_mul_i32 s15, s15, 24
	s_mul_hi_u32 s16, s14, 24
	s_mul_i32 s14, s14, 24
	s_add_i32 s15, s16, s15
	v_mov_b32_e32 v0, s15
	v_add_co_u32_e32 v4, vcc, s14, v4
	v_addc_co_u32_e32 v5, vcc, v5, v0, vcc
	global_store_dwordx2 v[4:5], v[12:13], off
	s_waitcnt vmcnt(0)
	global_atomic_cmpswap_x2 v[2:3], v6, v[10:13], s[6:7] offset:32 glc
	s_waitcnt vmcnt(0)
	v_cmp_ne_u64_e32 vcc, v[2:3], v[12:13]
	s_and_saveexec_b64 s[14:15], vcc
	s_cbranch_execz .LBB6_1548
; %bb.1546:
	s_mov_b64 s[16:17], 0
.LBB6_1547:                             ; =>This Inner Loop Header: Depth=1
	s_sleep 1
	global_store_dwordx2 v[4:5], v[2:3], off
	v_mov_b32_e32 v0, s10
	v_mov_b32_e32 v1, s11
	s_waitcnt vmcnt(0)
	global_atomic_cmpswap_x2 v[0:1], v6, v[0:3], s[6:7] offset:32 glc
	s_waitcnt vmcnt(0)
	v_cmp_eq_u64_e32 vcc, v[0:1], v[2:3]
	v_mov_b32_e32 v3, v1
	s_or_b64 s[16:17], vcc, s[16:17]
	v_mov_b32_e32 v2, v0
	s_andn2_b64 exec, exec, s[16:17]
	s_cbranch_execnz .LBB6_1547
.LBB6_1548:
	s_or_b64 exec, exec, s[14:15]
	v_mov_b32_e32 v3, 0
	global_load_dwordx2 v[0:1], v3, s[6:7] offset:16
	s_mov_b64 s[14:15], exec
	v_mbcnt_lo_u32_b32 v2, s14, 0
	v_mbcnt_hi_u32_b32 v2, s15, v2
	v_cmp_eq_u32_e32 vcc, 0, v2
	s_and_saveexec_b64 s[16:17], vcc
	s_cbranch_execz .LBB6_1550
; %bb.1549:
	s_bcnt1_i32_b64 s14, s[14:15]
	v_mov_b32_e32 v2, s14
	s_waitcnt vmcnt(0)
	global_atomic_add_x2 v[0:1], v[2:3], off offset:8
.LBB6_1550:
	s_or_b64 exec, exec, s[16:17]
	s_waitcnt vmcnt(0)
	global_load_dwordx2 v[2:3], v[0:1], off offset:16
	s_waitcnt vmcnt(0)
	v_cmp_eq_u64_e32 vcc, 0, v[2:3]
	s_cbranch_vccnz .LBB6_1552
; %bb.1551:
	global_load_dword v0, v[0:1], off offset:24
	v_mov_b32_e32 v1, 0
	s_waitcnt vmcnt(0)
	global_store_dwordx2 v[2:3], v[0:1], off
	v_and_b32_e32 v0, 0xffffff, v0
	v_readfirstlane_b32 m0, v0
	s_sendmsg sendmsg(MSG_INTERRUPT)
.LBB6_1552:
	s_or_b64 exec, exec, s[12:13]
	s_branch .LBB6_1556
.LBB6_1553:                             ;   in Loop: Header=BB6_1556 Depth=1
	s_or_b64 exec, exec, s[12:13]
	v_readfirstlane_b32 s12, v0
	s_cmp_eq_u32 s12, 0
	s_cbranch_scc1 .LBB6_1555
; %bb.1554:                             ;   in Loop: Header=BB6_1556 Depth=1
	s_sleep 1
	s_cbranch_execnz .LBB6_1556
	s_branch .LBB6_1558
.LBB6_1555:
	s_branch .LBB6_1558
.LBB6_1556:                             ; =>This Inner Loop Header: Depth=1
	v_mov_b32_e32 v0, 1
	s_and_saveexec_b64 s[12:13], s[4:5]
	s_cbranch_execz .LBB6_1553
; %bb.1557:                             ;   in Loop: Header=BB6_1556 Depth=1
	global_load_dword v0, v[8:9], off offset:20 glc
	s_waitcnt vmcnt(0)
	buffer_wbinvl1_vol
	v_and_b32_e32 v0, 1, v0
	s_branch .LBB6_1553
.LBB6_1558:
	s_and_saveexec_b64 s[12:13], s[4:5]
	s_cbranch_execz .LBB6_1561
; %bb.1559:
	v_mov_b32_e32 v6, 0
	global_load_dwordx2 v[2:3], v6, s[6:7] offset:40
	global_load_dwordx2 v[7:8], v6, s[6:7] offset:24 glc
	global_load_dwordx2 v[4:5], v6, s[6:7]
	v_mov_b32_e32 v1, s11
	s_mov_b64 s[4:5], 0
	s_waitcnt vmcnt(2)
	v_add_co_u32_e32 v9, vcc, 1, v2
	v_addc_co_u32_e32 v10, vcc, 0, v3, vcc
	v_add_co_u32_e32 v0, vcc, s10, v9
	v_addc_co_u32_e32 v1, vcc, v10, v1, vcc
	v_cmp_eq_u64_e32 vcc, 0, v[0:1]
	v_cndmask_b32_e32 v1, v1, v10, vcc
	v_cndmask_b32_e32 v0, v0, v9, vcc
	v_and_b32_e32 v3, v1, v3
	v_and_b32_e32 v2, v0, v2
	v_mul_lo_u32 v3, v3, 24
	v_mul_hi_u32 v9, v2, 24
	v_mul_lo_u32 v10, v2, 24
	s_waitcnt vmcnt(1)
	v_mov_b32_e32 v2, v7
	v_add_u32_e32 v3, v9, v3
	s_waitcnt vmcnt(0)
	v_add_co_u32_e32 v4, vcc, v4, v10
	v_addc_co_u32_e32 v5, vcc, v5, v3, vcc
	global_store_dwordx2 v[4:5], v[7:8], off
	v_mov_b32_e32 v3, v8
	s_waitcnt vmcnt(0)
	global_atomic_cmpswap_x2 v[2:3], v6, v[0:3], s[6:7] offset:24 glc
	s_waitcnt vmcnt(0)
	v_cmp_ne_u64_e32 vcc, v[2:3], v[7:8]
	s_and_b64 exec, exec, vcc
	s_cbranch_execz .LBB6_1561
.LBB6_1560:                             ; =>This Inner Loop Header: Depth=1
	s_sleep 1
	global_store_dwordx2 v[4:5], v[2:3], off
	s_waitcnt vmcnt(0)
	global_atomic_cmpswap_x2 v[7:8], v6, v[0:3], s[6:7] offset:24 glc
	s_waitcnt vmcnt(0)
	v_cmp_eq_u64_e32 vcc, v[7:8], v[2:3]
	v_mov_b32_e32 v2, v7
	s_or_b64 s[4:5], vcc, s[4:5]
	v_mov_b32_e32 v3, v8
	s_andn2_b64 exec, exec, s[4:5]
	s_cbranch_execnz .LBB6_1560
.LBB6_1561:
	s_or_b64 exec, exec, s[12:13]
.LBB6_1562:
	s_getpc_b64 s[4:5]
	s_add_u32 s4, s4, .str.12@rel32@lo+4
	s_addc_u32 s5, s5, .str.12@rel32@hi+12
	s_waitcnt vmcnt(0)
	v_mov_b32_e32 v0, s4
	v_mov_b32_e32 v1, s5
	s_mov_b64 s[24:25], src_private_base
	s_getpc_b64 s[50:51]
	s_add_u32 s50, s50, _ZNK8migraphx13basic_printerIZNS_4coutEvEUlT_E_ElsEPKc@rel32@lo+4
	s_addc_u32 s51, s51, _ZNK8migraphx13basic_printerIZNS_4coutEvEUlT_E_ElsEPKc@rel32@hi+12
	s_mov_b64 s[42:43], s[8:9]
	s_swappc_b64 s[30:31], s[50:51]
	s_getpc_b64 s[4:5]
	s_add_u32 s4, s4, .str.3@rel32@lo+4
	s_addc_u32 s5, s5, .str.3@rel32@hi+12
	s_mov_b64 s[8:9], s[42:43]
	v_mov_b32_e32 v0, s4
	v_mov_b32_e32 v1, s5
	s_swappc_b64 s[30:31], s[50:51]
	v_lshrrev_b32_e64 v0, 6, s33
	s_mov_b64 s[8:9], s[42:43]
	v_add_u32_e32 v0, 48, v0
	v_mov_b32_e32 v1, s25
	s_getpc_b64 s[4:5]
	s_add_u32 s4, s4, _ZN8migraphx4testlsIKNS_13basic_printerIZNS_4coutEvEUlT_E_EEEERS3_S7_RKNS0_10expressionINS0_14lhs_expressionIRNS_5arrayIiLj6EEENS0_3nopEEESC_NS0_5equalEEE@rel32@lo+4
	s_addc_u32 s5, s5, _ZN8migraphx4testlsIKNS_13basic_printerIZNS_4coutEvEUlT_E_EEEERS3_S7_RKNS0_10expressionINS0_14lhs_expressionIRNS_5arrayIiLj6EEENS0_3nopEEESC_NS0_5equalEEE@rel32@hi+12
	s_swappc_b64 s[30:31], s[4:5]
	s_getpc_b64 s[4:5]
	s_add_u32 s4, s4, .str.4@rel32@lo+4
	s_addc_u32 s5, s5, .str.4@rel32@hi+12
	s_mov_b64 s[8:9], s[42:43]
	v_mov_b32_e32 v0, s4
	v_mov_b32_e32 v1, s5
	s_swappc_b64 s[30:31], s[50:51]
	s_mov_b64 s[8:9], s[42:43]
	v_mov_b32_e32 v0, 10
	s_getpc_b64 s[4:5]
	s_add_u32 s4, s4, _ZNK8migraphx13basic_printerIZNS_4coutEvEUlT_E_ElsEc@rel32@lo+4
	s_addc_u32 s5, s5, _ZNK8migraphx13basic_printerIZNS_4coutEvEUlT_E_ElsEc@rel32@hi+12
	s_swappc_b64 s[30:31], s[4:5]
	flat_load_dwordx2 v[0:1], v[42:43]
	s_mov_b64 s[8:9], s[42:43]
	s_mov_b32 s14, s49
	s_mov_b32 s13, s48
	;; [unrolled: 1-line block ×3, first 2 shown]
	s_waitcnt vmcnt(0) lgkmcnt(0)
	flat_load_dword v2, v[0:1]
	s_waitcnt vmcnt(0) lgkmcnt(0)
	v_add_u32_e32 v2, 1, v2
	flat_store_dword v[0:1], v2
.LBB6_1563:
	s_or_b64 exec, exec, s[46:47]
	s_getpc_b64 s[4:5]
	s_add_u32 s4, s4, _ZN8migraphx4test4failEv@rel32@lo+4
	s_addc_u32 s5, s5, _ZN8migraphx4test4failEv@rel32@hi+12
	s_swappc_b64 s[30:31], s[4:5]
	; divergent unreachable
.LBB6_1564:
	s_andn2_saveexec_b64 s[4:5], s[44:45]
	s_or_b64 exec, exec, s[4:5]
	v_readlane_b32 s30, v44, 0
	v_readlane_b32 s31, v44, 1
	;; [unrolled: 1-line block ×3, first 2 shown]
	s_or_saveexec_b64 s[6:7], -1
	buffer_load_dword v44, off, s[0:3], s33 offset:64 ; 4-byte Folded Reload
	s_mov_b64 exec, s[6:7]
	s_addk_i32 s32, 0xec00
	s_mov_b32 s33, s4
	s_waitcnt vmcnt(0)
	s_setpc_b64 s[30:31]
.Lfunc_end6:
	.size	_ZL15sort_duplicatesRN8migraphx4test12test_managerE, .Lfunc_end6-_ZL15sort_duplicatesRN8migraphx4test12test_managerE
                                        ; -- End function
	.section	.AMDGPU.csdata,"",@progbits
; Function info:
; codeLenInByte = 53472
; NumSgprs: 56
; NumVgprs: 56
; ScratchSize: 96
; MemoryBound: 0
	.text
	.p2align	2                               ; -- Begin function _ZL23sort_default_comparatorRN8migraphx4test12test_managerE
	.type	_ZL23sort_default_comparatorRN8migraphx4test12test_managerE,@function
_ZL23sort_default_comparatorRN8migraphx4test12test_managerE: ; @_ZL23sort_default_comparatorRN8migraphx4test12test_managerE
; %bb.0:
	s_waitcnt vmcnt(0) expcnt(0) lgkmcnt(0)
	v_mov_b32_e32 v0, 1
	buffer_store_dword v0, off, s[0:3], s32
	v_mov_b32_e32 v0, 2
	v_mov_b32_e32 v1, 3
	;; [unrolled: 1-line block ×3, first 2 shown]
	buffer_store_dword v0, off, s[0:3], s32 offset:4
	buffer_store_dword v1, off, s[0:3], s32 offset:8
	;; [unrolled: 1-line block ×6, first 2 shown]
	s_waitcnt vmcnt(0)
	s_setpc_b64 s[30:31]
.Lfunc_end7:
	.size	_ZL23sort_default_comparatorRN8migraphx4test12test_managerE, .Lfunc_end7-_ZL23sort_default_comparatorRN8migraphx4test12test_managerE
                                        ; -- End function
	.section	.AMDGPU.csdata,"",@progbits
; Function info:
; codeLenInByte = 84
; NumSgprs: 37
; NumVgprs: 3
; ScratchSize: 56
; MemoryBound: 0
	.text
	.protected	gpu_test_kernel         ; -- Begin function gpu_test_kernel
	.globl	gpu_test_kernel
	.p2align	8
	.type	gpu_test_kernel,@function
gpu_test_kernel:                        ; @gpu_test_kernel
; %bb.0:
	s_add_u32 flat_scratch_lo, s6, s11
	s_addc_u32 flat_scratch_hi, s7, 0
	s_load_dwordx2 s[6:7], s[4:5], 0x8
	s_load_dword s58, s[4:5], 0x0
	s_add_u32 s0, s0, s11
	s_addc_u32 s1, s1, 0
	v_mov_b32_e32 v45, v0
	s_waitcnt lgkmcnt(0)
	v_mov_b32_e32 v0, s7
	buffer_store_dword v0, off, s[0:3], 0 offset:52
	v_mov_b32_e32 v0, s6
	s_mov_b32 s52, s9
	s_mov_b32 s53, s8
	s_cmp_lt_i32 s58, 2
	s_mov_b64 s[54:55], src_private_base
	s_movk_i32 s32, 0x1000
	buffer_store_dword v0, off, s[0:3], 0 offset:48
	s_cbranch_scc1 .LBB8_10
; %bb.1:
	s_cmp_lt_i32 s58, 5
	s_mov_b64 s[6:7], -1
	s_cbranch_scc1 .LBB8_5
; %bb.2:
	s_cmp_eq_u32 s58, 5
	s_cbranch_scc0 .LBB8_4
; %bb.3:
	s_add_u32 s8, s4, 16
	s_addc_u32 s9, s5, 0
	s_mov_b32 s12, s53
	s_mov_b32 s13, s52
	s_mov_b32 s14, s10
	v_mov_b32_e32 v31, v45
	v_mov_b32_e32 v0, 48
	;; [unrolled: 1-line block ×3, first 2 shown]
	s_getpc_b64 s[6:7]
	s_add_u32 s6, s6, _ZL23sort_default_comparatorRN8migraphx4test12test_managerE@rel32@lo+4
	s_addc_u32 s7, s7, _ZL23sort_default_comparatorRN8migraphx4test12test_managerE@rel32@hi+12
	s_swappc_b64 s[30:31], s[6:7]
.LBB8_4:
	s_mov_b64 s[6:7], 0
.LBB8_5:
	s_andn2_b64 vcc, exec, s[6:7]
	s_cbranch_vccnz .LBB8_8
; %bb.6:
	s_cmp_eq_u32 s58, 2
	s_cbranch_scc0 .LBB8_8
; %bb.7:
	s_add_u32 s8, s4, 16
	s_addc_u32 s9, s5, 0
	s_mov_b32 s12, s53
	s_mov_b32 s13, s52
	;; [unrolled: 1-line block ×3, first 2 shown]
	v_mov_b32_e32 v31, v45
	v_mov_b32_e32 v0, 48
	;; [unrolled: 1-line block ×3, first 2 shown]
	s_getpc_b64 s[6:7]
	s_add_u32 s6, s6, _ZL15sort_duplicatesRN8migraphx4test12test_managerE@rel32@lo+4
	s_addc_u32 s7, s7, _ZL15sort_duplicatesRN8migraphx4test12test_managerE@rel32@hi+12
	s_mov_b64 s[56:57], s[4:5]
	s_mov_b32 s54, s10
	s_swappc_b64 s[30:31], s[6:7]
	s_mov_b32 s10, s54
	s_mov_b64 s[4:5], s[56:57]
.LBB8_8:
	s_mov_b64 s[44:45], -1
	s_cbranch_execz .LBB8_11
.LBB8_9:
	s_and_saveexec_b64 s[4:5], s[44:45]
	s_endpgm
.LBB8_10:
	s_mov_b64 s[44:45], 0
.LBB8_11:
	s_cmp_gt_i32 s58, 0
	s_mov_b64 s[6:7], -1
	s_cbranch_scc0 .LBB8_13
; %bb.12:
	s_add_u32 s8, s4, 16
	s_addc_u32 s9, s5, 0
	s_mov_b32 s12, s53
	s_mov_b32 s13, s52
	;; [unrolled: 1-line block ×3, first 2 shown]
	v_mov_b32_e32 v31, v45
	v_mov_b32_e32 v0, 48
	;; [unrolled: 1-line block ×3, first 2 shown]
	s_getpc_b64 s[6:7]
	s_add_u32 s6, s6, _ZL19sort_reverse_sortedRN8migraphx4test12test_managerE@rel32@lo+4
	s_addc_u32 s7, s7, _ZL19sort_reverse_sortedRN8migraphx4test12test_managerE@rel32@hi+12
	s_swappc_b64 s[30:31], s[6:7]
	s_mov_b64 s[6:7], 0
	s_mov_b64 s[44:45], -1
.LBB8_13:
	s_andn2_b64 vcc, exec, s[6:7]
	s_cbranch_vccnz .LBB8_9
; %bb.14:
	s_cmp_eq_u32 s58, 0
	s_mov_b64 s[44:45], -1
	s_cbranch_scc0 .LBB8_9
; %bb.15:
	s_mov_b64 s[6:7], src_private_base
	v_mov_b32_e32 v0, 1
	v_mov_b32_e32 v1, 2
	;; [unrolled: 1-line block ×4, first 2 shown]
	buffer_store_dword v0, off, s[0:3], 0
	buffer_store_dword v1, off, s[0:3], 0 offset:4
	buffer_store_dword v2, off, s[0:3], 0 offset:8
	;; [unrolled: 1-line block ×7, first 2 shown]
	v_mov_b32_e32 v0, s7
	v_mov_b32_e32 v1, 0
	buffer_store_dword v0, off, s[0:3], 0 offset:36
	buffer_store_dword v1, off, s[0:3], 0 offset:32
	;; [unrolled: 1-line block ×3, first 2 shown]
	v_mov_b32_e32 v0, 16
	s_mov_b64 s[44:45], 0
	buffer_store_dword v0, off, s[0:3], 0 offset:40
	s_and_saveexec_b64 s[6:7], s[44:45]
	s_xor_b64 s[46:47], exec, s[6:7]
	s_cbranch_execz .LBB8_1750
; %bb.16:
	v_cmp_eq_u32_e32 vcc, 0, v45
	s_and_saveexec_b64 s[48:49], vcc
	s_cbranch_execz .LBB8_1749
; %bb.17:
	s_load_dwordx2 s[50:51], s[4:5], 0x60
	v_mbcnt_lo_u32_b32 v0, -1, 0
	v_mbcnt_hi_u32_b32 v43, -1, v0
	v_readfirstlane_b32 s6, v43
	v_mov_b32_e32 v5, 0
	v_mov_b32_e32 v6, 0
	v_cmp_eq_u32_e64 s[6:7], s6, v43
	s_and_saveexec_b64 s[8:9], s[6:7]
	s_cbranch_execz .LBB8_23
; %bb.18:
	v_mov_b32_e32 v0, 0
	s_waitcnt lgkmcnt(0)
	global_load_dwordx2 v[3:4], v0, s[50:51] offset:24 glc
	s_waitcnt vmcnt(0)
	buffer_wbinvl1_vol
	global_load_dwordx2 v[1:2], v0, s[50:51] offset:40
	global_load_dwordx2 v[5:6], v0, s[50:51]
	s_waitcnt vmcnt(1)
	v_and_b32_e32 v1, v1, v3
	v_and_b32_e32 v2, v2, v4
	v_mul_lo_u32 v2, v2, 24
	v_mul_hi_u32 v7, v1, 24
	v_mul_lo_u32 v1, v1, 24
	v_add_u32_e32 v2, v7, v2
	s_waitcnt vmcnt(0)
	v_add_co_u32_e32 v1, vcc, v5, v1
	v_addc_co_u32_e32 v2, vcc, v6, v2, vcc
	global_load_dwordx2 v[1:2], v[1:2], off glc
	s_waitcnt vmcnt(0)
	global_atomic_cmpswap_x2 v[5:6], v0, v[1:4], s[50:51] offset:24 glc
	s_waitcnt vmcnt(0)
	buffer_wbinvl1_vol
	v_cmp_ne_u64_e32 vcc, v[5:6], v[3:4]
	s_and_saveexec_b64 s[12:13], vcc
	s_cbranch_execz .LBB8_22
; %bb.19:
	s_mov_b64 s[14:15], 0
.LBB8_20:                               ; =>This Inner Loop Header: Depth=1
	s_sleep 1
	global_load_dwordx2 v[1:2], v0, s[50:51] offset:40
	global_load_dwordx2 v[7:8], v0, s[50:51]
	v_mov_b32_e32 v3, v5
	v_mov_b32_e32 v4, v6
	s_waitcnt vmcnt(1)
	v_and_b32_e32 v1, v1, v3
	s_waitcnt vmcnt(0)
	v_mad_u64_u32 v[5:6], s[16:17], v1, 24, v[7:8]
	v_and_b32_e32 v2, v2, v4
	v_mov_b32_e32 v1, v6
	v_mad_u64_u32 v[1:2], s[16:17], v2, 24, v[1:2]
	v_mov_b32_e32 v6, v1
	global_load_dwordx2 v[1:2], v[5:6], off glc
	s_waitcnt vmcnt(0)
	global_atomic_cmpswap_x2 v[5:6], v0, v[1:4], s[50:51] offset:24 glc
	s_waitcnt vmcnt(0)
	buffer_wbinvl1_vol
	v_cmp_eq_u64_e32 vcc, v[5:6], v[3:4]
	s_or_b64 s[14:15], vcc, s[14:15]
	s_andn2_b64 exec, exec, s[14:15]
	s_cbranch_execnz .LBB8_20
; %bb.21:
	s_or_b64 exec, exec, s[14:15]
.LBB8_22:
	s_or_b64 exec, exec, s[12:13]
.LBB8_23:
	s_or_b64 exec, exec, s[8:9]
	v_mov_b32_e32 v4, 0
	s_waitcnt lgkmcnt(0)
	global_load_dwordx2 v[7:8], v4, s[50:51] offset:40
	global_load_dwordx4 v[0:3], v4, s[50:51]
	v_readfirstlane_b32 s8, v5
	v_readfirstlane_b32 s9, v6
	s_mov_b64 s[12:13], exec
	s_waitcnt vmcnt(1)
	v_readfirstlane_b32 s14, v7
	v_readfirstlane_b32 s15, v8
	s_and_b64 s[14:15], s[8:9], s[14:15]
	s_mul_i32 s11, s15, 24
	s_mul_hi_u32 s16, s14, 24
	s_mul_i32 s17, s14, 24
	s_add_i32 s11, s16, s11
	v_mov_b32_e32 v5, s11
	s_waitcnt vmcnt(0)
	v_add_co_u32_e32 v7, vcc, s17, v0
	v_addc_co_u32_e32 v8, vcc, v1, v5, vcc
	s_and_saveexec_b64 s[16:17], s[6:7]
	s_cbranch_execz .LBB8_25
; %bb.24:
	v_mov_b32_e32 v9, s12
	v_mov_b32_e32 v10, s13
	;; [unrolled: 1-line block ×4, first 2 shown]
	global_store_dwordx4 v[7:8], v[9:12], off offset:8
.LBB8_25:
	s_or_b64 exec, exec, s[16:17]
	s_lshl_b64 s[12:13], s[14:15], 12
	v_mov_b32_e32 v5, s13
	v_add_co_u32_e32 v2, vcc, s12, v2
	v_addc_co_u32_e32 v11, vcc, v3, v5, vcc
	s_mov_b32 s12, 0
	v_lshlrev_b32_e32 v42, 6, v43
	v_mov_b32_e32 v3, 33
	v_mov_b32_e32 v5, v4
	;; [unrolled: 1-line block ×3, first 2 shown]
	v_readfirstlane_b32 s16, v2
	v_readfirstlane_b32 s17, v11
	v_add_co_u32_e32 v9, vcc, v2, v42
	s_mov_b32 s13, s12
	s_mov_b32 s14, s12
	;; [unrolled: 1-line block ×3, first 2 shown]
	s_nop 0
	global_store_dwordx4 v42, v[3:6], s[16:17]
	v_mov_b32_e32 v2, s12
	v_addc_co_u32_e32 v10, vcc, 0, v11, vcc
	v_mov_b32_e32 v3, s13
	v_mov_b32_e32 v4, s14
	;; [unrolled: 1-line block ×3, first 2 shown]
	global_store_dwordx4 v42, v[2:5], s[16:17] offset:16
	global_store_dwordx4 v42, v[2:5], s[16:17] offset:32
	;; [unrolled: 1-line block ×3, first 2 shown]
	s_and_saveexec_b64 s[12:13], s[6:7]
	s_cbranch_execz .LBB8_33
; %bb.26:
	v_mov_b32_e32 v6, 0
	global_load_dwordx2 v[13:14], v6, s[50:51] offset:32 glc
	global_load_dwordx2 v[2:3], v6, s[50:51] offset:40
	v_mov_b32_e32 v11, s8
	v_mov_b32_e32 v12, s9
	s_waitcnt vmcnt(0)
	v_and_b32_e32 v2, s8, v2
	v_and_b32_e32 v3, s9, v3
	v_mul_lo_u32 v3, v3, 24
	v_mul_hi_u32 v4, v2, 24
	v_mul_lo_u32 v2, v2, 24
	v_add_u32_e32 v3, v4, v3
	v_add_co_u32_e32 v4, vcc, v0, v2
	v_addc_co_u32_e32 v5, vcc, v1, v3, vcc
	global_store_dwordx2 v[4:5], v[13:14], off
	s_waitcnt vmcnt(0)
	global_atomic_cmpswap_x2 v[2:3], v6, v[11:14], s[50:51] offset:32 glc
	s_waitcnt vmcnt(0)
	v_cmp_ne_u64_e32 vcc, v[2:3], v[13:14]
	s_and_saveexec_b64 s[14:15], vcc
	s_cbranch_execz .LBB8_29
; %bb.27:
	s_mov_b64 s[16:17], 0
.LBB8_28:                               ; =>This Inner Loop Header: Depth=1
	s_sleep 1
	global_store_dwordx2 v[4:5], v[2:3], off
	v_mov_b32_e32 v0, s8
	v_mov_b32_e32 v1, s9
	s_waitcnt vmcnt(0)
	global_atomic_cmpswap_x2 v[0:1], v6, v[0:3], s[50:51] offset:32 glc
	s_waitcnt vmcnt(0)
	v_cmp_eq_u64_e32 vcc, v[0:1], v[2:3]
	v_mov_b32_e32 v3, v1
	s_or_b64 s[16:17], vcc, s[16:17]
	v_mov_b32_e32 v2, v0
	s_andn2_b64 exec, exec, s[16:17]
	s_cbranch_execnz .LBB8_28
.LBB8_29:
	s_or_b64 exec, exec, s[14:15]
	v_mov_b32_e32 v3, 0
	global_load_dwordx2 v[0:1], v3, s[50:51] offset:16
	s_mov_b64 s[14:15], exec
	v_mbcnt_lo_u32_b32 v2, s14, 0
	v_mbcnt_hi_u32_b32 v2, s15, v2
	v_cmp_eq_u32_e32 vcc, 0, v2
	s_and_saveexec_b64 s[16:17], vcc
	s_cbranch_execz .LBB8_31
; %bb.30:
	s_bcnt1_i32_b64 s11, s[14:15]
	v_mov_b32_e32 v2, s11
	s_waitcnt vmcnt(0)
	global_atomic_add_x2 v[0:1], v[2:3], off offset:8
.LBB8_31:
	s_or_b64 exec, exec, s[16:17]
	s_waitcnt vmcnt(0)
	global_load_dwordx2 v[2:3], v[0:1], off offset:16
	s_waitcnt vmcnt(0)
	v_cmp_eq_u64_e32 vcc, 0, v[2:3]
	s_cbranch_vccnz .LBB8_33
; %bb.32:
	global_load_dword v0, v[0:1], off offset:24
	v_mov_b32_e32 v1, 0
	s_waitcnt vmcnt(0)
	global_store_dwordx2 v[2:3], v[0:1], off
	v_and_b32_e32 v0, 0xffffff, v0
	v_readfirstlane_b32 m0, v0
	s_sendmsg sendmsg(MSG_INTERRUPT)
.LBB8_33:
	s_or_b64 exec, exec, s[12:13]
	s_branch .LBB8_37
.LBB8_34:                               ;   in Loop: Header=BB8_37 Depth=1
	s_or_b64 exec, exec, s[12:13]
	v_readfirstlane_b32 s11, v0
	s_cmp_eq_u32 s11, 0
	s_cbranch_scc1 .LBB8_36
; %bb.35:                               ;   in Loop: Header=BB8_37 Depth=1
	s_sleep 1
	s_cbranch_execnz .LBB8_37
	s_branch .LBB8_39
.LBB8_36:
	s_branch .LBB8_39
.LBB8_37:                               ; =>This Inner Loop Header: Depth=1
	v_mov_b32_e32 v0, 1
	s_and_saveexec_b64 s[12:13], s[6:7]
	s_cbranch_execz .LBB8_34
; %bb.38:                               ;   in Loop: Header=BB8_37 Depth=1
	global_load_dword v0, v[7:8], off offset:20 glc
	s_waitcnt vmcnt(0)
	buffer_wbinvl1_vol
	v_and_b32_e32 v0, 1, v0
	s_branch .LBB8_34
.LBB8_39:
	global_load_dwordx2 v[4:5], v[9:10], off
	s_and_saveexec_b64 s[12:13], s[6:7]
	s_cbranch_execz .LBB8_42
; %bb.40:
	v_mov_b32_e32 v8, 0
	global_load_dwordx2 v[2:3], v8, s[50:51] offset:40
	global_load_dwordx2 v[9:10], v8, s[50:51] offset:24 glc
	global_load_dwordx2 v[6:7], v8, s[50:51]
	v_mov_b32_e32 v1, s9
	s_mov_b64 s[6:7], 0
	s_waitcnt vmcnt(2)
	v_add_co_u32_e32 v11, vcc, 1, v2
	v_addc_co_u32_e32 v12, vcc, 0, v3, vcc
	v_add_co_u32_e32 v0, vcc, s8, v11
	v_addc_co_u32_e32 v1, vcc, v12, v1, vcc
	v_cmp_eq_u64_e32 vcc, 0, v[0:1]
	v_cndmask_b32_e32 v1, v1, v12, vcc
	v_cndmask_b32_e32 v0, v0, v11, vcc
	v_and_b32_e32 v3, v1, v3
	v_and_b32_e32 v2, v0, v2
	v_mul_lo_u32 v3, v3, 24
	v_mul_hi_u32 v11, v2, 24
	v_mul_lo_u32 v12, v2, 24
	s_waitcnt vmcnt(1)
	v_mov_b32_e32 v2, v9
	v_add_u32_e32 v3, v11, v3
	s_waitcnt vmcnt(0)
	v_add_co_u32_e32 v6, vcc, v6, v12
	v_addc_co_u32_e32 v7, vcc, v7, v3, vcc
	global_store_dwordx2 v[6:7], v[9:10], off
	v_mov_b32_e32 v3, v10
	s_waitcnt vmcnt(0)
	global_atomic_cmpswap_x2 v[2:3], v8, v[0:3], s[50:51] offset:24 glc
	s_waitcnt vmcnt(0)
	v_cmp_ne_u64_e32 vcc, v[2:3], v[9:10]
	s_and_b64 exec, exec, vcc
	s_cbranch_execz .LBB8_42
.LBB8_41:                               ; =>This Inner Loop Header: Depth=1
	s_sleep 1
	global_store_dwordx2 v[6:7], v[2:3], off
	s_waitcnt vmcnt(0)
	global_atomic_cmpswap_x2 v[9:10], v8, v[0:3], s[50:51] offset:24 glc
	s_waitcnt vmcnt(0)
	v_cmp_eq_u64_e32 vcc, v[9:10], v[2:3]
	v_mov_b32_e32 v2, v9
	s_or_b64 s[6:7], vcc, s[6:7]
	v_mov_b32_e32 v3, v10
	s_andn2_b64 exec, exec, s[6:7]
	s_cbranch_execnz .LBB8_41
.LBB8_42:
	s_or_b64 exec, exec, s[12:13]
	s_getpc_b64 s[12:13]
	s_add_u32 s12, s12, .str.5@rel32@lo+4
	s_addc_u32 s13, s13, .str.5@rel32@hi+12
	s_cmp_lg_u64 s[12:13], 0
	s_cselect_b64 s[8:9], -1, 0
	s_and_b64 vcc, exec, s[8:9]
	s_cbranch_vccz .LBB8_127
; %bb.43:
	s_waitcnt vmcnt(0)
	v_and_b32_e32 v29, 2, v4
	v_mov_b32_e32 v26, 0
	v_and_b32_e32 v0, -3, v4
	v_mov_b32_e32 v1, v5
	s_mov_b64 s[14:15], 3
	v_mov_b32_e32 v8, 2
	v_mov_b32_e32 v9, 1
	s_branch .LBB8_45
.LBB8_44:                               ;   in Loop: Header=BB8_45 Depth=1
	s_or_b64 exec, exec, s[20:21]
	s_sub_u32 s14, s14, s16
	s_subb_u32 s15, s15, s17
	s_add_u32 s12, s12, s16
	s_addc_u32 s13, s13, s17
	s_cmp_lg_u64 s[14:15], 0
	s_cbranch_scc0 .LBB8_126
.LBB8_45:                               ; =>This Loop Header: Depth=1
                                        ;     Child Loop BB8_48 Depth 2
                                        ;     Child Loop BB8_55 Depth 2
	;; [unrolled: 1-line block ×11, first 2 shown]
	v_cmp_lt_u64_e64 s[6:7], s[14:15], 56
	v_cmp_gt_u64_e64 s[18:19], s[14:15], 7
	s_and_b64 s[6:7], s[6:7], exec
	s_cselect_b32 s17, s15, 0
	s_cselect_b32 s16, s14, 56
	s_and_b64 vcc, exec, s[18:19]
	s_cbranch_vccnz .LBB8_50
; %bb.46:                               ;   in Loop: Header=BB8_45 Depth=1
	s_waitcnt vmcnt(0)
	v_mov_b32_e32 v2, 0
	s_cmp_eq_u64 s[14:15], 0
	v_mov_b32_e32 v3, 0
	s_mov_b64 s[6:7], 0
	s_cbranch_scc1 .LBB8_49
; %bb.47:                               ;   in Loop: Header=BB8_45 Depth=1
	v_mov_b32_e32 v2, 0
	s_lshl_b64 s[18:19], s[16:17], 3
	s_mov_b64 s[20:21], 0
	v_mov_b32_e32 v3, 0
	s_mov_b64 s[22:23], s[12:13]
.LBB8_48:                               ;   Parent Loop BB8_45 Depth=1
                                        ; =>  This Inner Loop Header: Depth=2
	global_load_ubyte v6, v26, s[22:23]
	s_waitcnt vmcnt(0)
	v_and_b32_e32 v25, 0xffff, v6
	v_lshlrev_b64 v[6:7], s20, v[25:26]
	s_add_u32 s20, s20, 8
	s_addc_u32 s21, s21, 0
	s_add_u32 s22, s22, 1
	s_addc_u32 s23, s23, 0
	v_or_b32_e32 v2, v6, v2
	s_cmp_lg_u32 s18, s20
	v_or_b32_e32 v3, v7, v3
	s_cbranch_scc1 .LBB8_48
.LBB8_49:                               ;   in Loop: Header=BB8_45 Depth=1
	s_mov_b32 s11, 0
	s_andn2_b64 vcc, exec, s[6:7]
	s_mov_b64 s[6:7], s[12:13]
	s_cbranch_vccz .LBB8_51
	s_branch .LBB8_52
.LBB8_50:                               ;   in Loop: Header=BB8_45 Depth=1
                                        ; implicit-def: $vgpr2_vgpr3
                                        ; implicit-def: $sgpr11
	s_mov_b64 s[6:7], s[12:13]
.LBB8_51:                               ;   in Loop: Header=BB8_45 Depth=1
	global_load_dwordx2 v[2:3], v26, s[12:13]
	s_add_i32 s11, s16, -8
	s_add_u32 s6, s12, 8
	s_addc_u32 s7, s13, 0
.LBB8_52:                               ;   in Loop: Header=BB8_45 Depth=1
	s_cmp_gt_u32 s11, 7
	s_cbranch_scc1 .LBB8_56
; %bb.53:                               ;   in Loop: Header=BB8_45 Depth=1
	s_cmp_eq_u32 s11, 0
	s_cbranch_scc1 .LBB8_57
; %bb.54:                               ;   in Loop: Header=BB8_45 Depth=1
	v_mov_b32_e32 v10, 0
	s_mov_b64 s[18:19], 0
	v_mov_b32_e32 v11, 0
	s_mov_b64 s[20:21], 0
.LBB8_55:                               ;   Parent Loop BB8_45 Depth=1
                                        ; =>  This Inner Loop Header: Depth=2
	s_add_u32 s22, s6, s20
	s_addc_u32 s23, s7, s21
	global_load_ubyte v6, v26, s[22:23]
	s_add_u32 s20, s20, 1
	s_addc_u32 s21, s21, 0
	s_waitcnt vmcnt(0)
	v_and_b32_e32 v25, 0xffff, v6
	v_lshlrev_b64 v[6:7], s18, v[25:26]
	s_add_u32 s18, s18, 8
	s_addc_u32 s19, s19, 0
	v_or_b32_e32 v10, v6, v10
	s_cmp_lg_u32 s11, s20
	v_or_b32_e32 v11, v7, v11
	s_cbranch_scc1 .LBB8_55
	s_branch .LBB8_58
.LBB8_56:                               ;   in Loop: Header=BB8_45 Depth=1
                                        ; implicit-def: $vgpr10_vgpr11
                                        ; implicit-def: $sgpr22
	s_branch .LBB8_59
.LBB8_57:                               ;   in Loop: Header=BB8_45 Depth=1
	v_mov_b32_e32 v10, 0
	v_mov_b32_e32 v11, 0
.LBB8_58:                               ;   in Loop: Header=BB8_45 Depth=1
	s_mov_b32 s22, 0
	s_cbranch_execnz .LBB8_60
.LBB8_59:                               ;   in Loop: Header=BB8_45 Depth=1
	global_load_dwordx2 v[10:11], v26, s[6:7]
	s_add_i32 s22, s11, -8
	s_add_u32 s6, s6, 8
	s_addc_u32 s7, s7, 0
.LBB8_60:                               ;   in Loop: Header=BB8_45 Depth=1
	s_cmp_gt_u32 s22, 7
	s_cbranch_scc1 .LBB8_64
; %bb.61:                               ;   in Loop: Header=BB8_45 Depth=1
	s_cmp_eq_u32 s22, 0
	s_cbranch_scc1 .LBB8_65
; %bb.62:                               ;   in Loop: Header=BB8_45 Depth=1
	v_mov_b32_e32 v12, 0
	s_mov_b64 s[18:19], 0
	v_mov_b32_e32 v13, 0
	s_mov_b64 s[20:21], 0
.LBB8_63:                               ;   Parent Loop BB8_45 Depth=1
                                        ; =>  This Inner Loop Header: Depth=2
	s_add_u32 s24, s6, s20
	s_addc_u32 s25, s7, s21
	global_load_ubyte v6, v26, s[24:25]
	s_add_u32 s20, s20, 1
	s_addc_u32 s21, s21, 0
	s_waitcnt vmcnt(0)
	v_and_b32_e32 v25, 0xffff, v6
	v_lshlrev_b64 v[6:7], s18, v[25:26]
	s_add_u32 s18, s18, 8
	s_addc_u32 s19, s19, 0
	v_or_b32_e32 v12, v6, v12
	s_cmp_lg_u32 s22, s20
	v_or_b32_e32 v13, v7, v13
	s_cbranch_scc1 .LBB8_63
	s_branch .LBB8_66
.LBB8_64:                               ;   in Loop: Header=BB8_45 Depth=1
                                        ; implicit-def: $sgpr11
	s_branch .LBB8_67
.LBB8_65:                               ;   in Loop: Header=BB8_45 Depth=1
	v_mov_b32_e32 v12, 0
	v_mov_b32_e32 v13, 0
.LBB8_66:                               ;   in Loop: Header=BB8_45 Depth=1
	s_mov_b32 s11, 0
	s_cbranch_execnz .LBB8_68
.LBB8_67:                               ;   in Loop: Header=BB8_45 Depth=1
	global_load_dwordx2 v[12:13], v26, s[6:7]
	s_add_i32 s11, s22, -8
	s_add_u32 s6, s6, 8
	s_addc_u32 s7, s7, 0
.LBB8_68:                               ;   in Loop: Header=BB8_45 Depth=1
	s_cmp_gt_u32 s11, 7
	s_cbranch_scc1 .LBB8_72
; %bb.69:                               ;   in Loop: Header=BB8_45 Depth=1
	s_cmp_eq_u32 s11, 0
	s_cbranch_scc1 .LBB8_73
; %bb.70:                               ;   in Loop: Header=BB8_45 Depth=1
	v_mov_b32_e32 v14, 0
	s_mov_b64 s[18:19], 0
	v_mov_b32_e32 v15, 0
	s_mov_b64 s[20:21], 0
.LBB8_71:                               ;   Parent Loop BB8_45 Depth=1
                                        ; =>  This Inner Loop Header: Depth=2
	s_add_u32 s22, s6, s20
	s_addc_u32 s23, s7, s21
	global_load_ubyte v6, v26, s[22:23]
	s_add_u32 s20, s20, 1
	s_addc_u32 s21, s21, 0
	s_waitcnt vmcnt(0)
	v_and_b32_e32 v25, 0xffff, v6
	v_lshlrev_b64 v[6:7], s18, v[25:26]
	s_add_u32 s18, s18, 8
	s_addc_u32 s19, s19, 0
	v_or_b32_e32 v14, v6, v14
	s_cmp_lg_u32 s11, s20
	v_or_b32_e32 v15, v7, v15
	s_cbranch_scc1 .LBB8_71
	s_branch .LBB8_74
.LBB8_72:                               ;   in Loop: Header=BB8_45 Depth=1
                                        ; implicit-def: $vgpr14_vgpr15
                                        ; implicit-def: $sgpr22
	s_branch .LBB8_75
.LBB8_73:                               ;   in Loop: Header=BB8_45 Depth=1
	v_mov_b32_e32 v14, 0
	v_mov_b32_e32 v15, 0
.LBB8_74:                               ;   in Loop: Header=BB8_45 Depth=1
	s_mov_b32 s22, 0
	s_cbranch_execnz .LBB8_76
.LBB8_75:                               ;   in Loop: Header=BB8_45 Depth=1
	global_load_dwordx2 v[14:15], v26, s[6:7]
	s_add_i32 s22, s11, -8
	s_add_u32 s6, s6, 8
	s_addc_u32 s7, s7, 0
.LBB8_76:                               ;   in Loop: Header=BB8_45 Depth=1
	s_cmp_gt_u32 s22, 7
	s_cbranch_scc1 .LBB8_80
; %bb.77:                               ;   in Loop: Header=BB8_45 Depth=1
	s_cmp_eq_u32 s22, 0
	s_cbranch_scc1 .LBB8_81
; %bb.78:                               ;   in Loop: Header=BB8_45 Depth=1
	v_mov_b32_e32 v16, 0
	s_mov_b64 s[18:19], 0
	v_mov_b32_e32 v17, 0
	s_mov_b64 s[20:21], 0
.LBB8_79:                               ;   Parent Loop BB8_45 Depth=1
                                        ; =>  This Inner Loop Header: Depth=2
	s_add_u32 s24, s6, s20
	s_addc_u32 s25, s7, s21
	global_load_ubyte v6, v26, s[24:25]
	s_add_u32 s20, s20, 1
	s_addc_u32 s21, s21, 0
	s_waitcnt vmcnt(0)
	v_and_b32_e32 v25, 0xffff, v6
	v_lshlrev_b64 v[6:7], s18, v[25:26]
	s_add_u32 s18, s18, 8
	s_addc_u32 s19, s19, 0
	v_or_b32_e32 v16, v6, v16
	s_cmp_lg_u32 s22, s20
	v_or_b32_e32 v17, v7, v17
	s_cbranch_scc1 .LBB8_79
	s_branch .LBB8_82
.LBB8_80:                               ;   in Loop: Header=BB8_45 Depth=1
                                        ; implicit-def: $sgpr11
	s_branch .LBB8_83
.LBB8_81:                               ;   in Loop: Header=BB8_45 Depth=1
	v_mov_b32_e32 v16, 0
	v_mov_b32_e32 v17, 0
.LBB8_82:                               ;   in Loop: Header=BB8_45 Depth=1
	s_mov_b32 s11, 0
	s_cbranch_execnz .LBB8_84
.LBB8_83:                               ;   in Loop: Header=BB8_45 Depth=1
	global_load_dwordx2 v[16:17], v26, s[6:7]
	s_add_i32 s11, s22, -8
	s_add_u32 s6, s6, 8
	s_addc_u32 s7, s7, 0
.LBB8_84:                               ;   in Loop: Header=BB8_45 Depth=1
	s_cmp_gt_u32 s11, 7
	s_cbranch_scc1 .LBB8_88
; %bb.85:                               ;   in Loop: Header=BB8_45 Depth=1
	s_cmp_eq_u32 s11, 0
	s_cbranch_scc1 .LBB8_89
; %bb.86:                               ;   in Loop: Header=BB8_45 Depth=1
	v_mov_b32_e32 v18, 0
	s_mov_b64 s[18:19], 0
	v_mov_b32_e32 v19, 0
	s_mov_b64 s[20:21], 0
.LBB8_87:                               ;   Parent Loop BB8_45 Depth=1
                                        ; =>  This Inner Loop Header: Depth=2
	s_add_u32 s22, s6, s20
	s_addc_u32 s23, s7, s21
	global_load_ubyte v6, v26, s[22:23]
	s_add_u32 s20, s20, 1
	s_addc_u32 s21, s21, 0
	s_waitcnt vmcnt(0)
	v_and_b32_e32 v25, 0xffff, v6
	v_lshlrev_b64 v[6:7], s18, v[25:26]
	s_add_u32 s18, s18, 8
	s_addc_u32 s19, s19, 0
	v_or_b32_e32 v18, v6, v18
	s_cmp_lg_u32 s11, s20
	v_or_b32_e32 v19, v7, v19
	s_cbranch_scc1 .LBB8_87
	s_branch .LBB8_90
.LBB8_88:                               ;   in Loop: Header=BB8_45 Depth=1
                                        ; implicit-def: $vgpr18_vgpr19
                                        ; implicit-def: $sgpr22
	s_branch .LBB8_91
.LBB8_89:                               ;   in Loop: Header=BB8_45 Depth=1
	v_mov_b32_e32 v18, 0
	v_mov_b32_e32 v19, 0
.LBB8_90:                               ;   in Loop: Header=BB8_45 Depth=1
	s_mov_b32 s22, 0
	s_cbranch_execnz .LBB8_92
.LBB8_91:                               ;   in Loop: Header=BB8_45 Depth=1
	global_load_dwordx2 v[18:19], v26, s[6:7]
	s_add_i32 s22, s11, -8
	s_add_u32 s6, s6, 8
	s_addc_u32 s7, s7, 0
.LBB8_92:                               ;   in Loop: Header=BB8_45 Depth=1
	s_cmp_gt_u32 s22, 7
	s_cbranch_scc1 .LBB8_96
; %bb.93:                               ;   in Loop: Header=BB8_45 Depth=1
	s_cmp_eq_u32 s22, 0
	s_cbranch_scc1 .LBB8_97
; %bb.94:                               ;   in Loop: Header=BB8_45 Depth=1
	v_mov_b32_e32 v20, 0
	s_mov_b64 s[18:19], 0
	v_mov_b32_e32 v21, 0
	s_mov_b64 s[20:21], s[6:7]
.LBB8_95:                               ;   Parent Loop BB8_45 Depth=1
                                        ; =>  This Inner Loop Header: Depth=2
	global_load_ubyte v6, v26, s[20:21]
	s_add_i32 s22, s22, -1
	s_waitcnt vmcnt(0)
	v_and_b32_e32 v25, 0xffff, v6
	v_lshlrev_b64 v[6:7], s18, v[25:26]
	s_add_u32 s18, s18, 8
	s_addc_u32 s19, s19, 0
	s_add_u32 s20, s20, 1
	s_addc_u32 s21, s21, 0
	v_or_b32_e32 v20, v6, v20
	s_cmp_lg_u32 s22, 0
	v_or_b32_e32 v21, v7, v21
	s_cbranch_scc1 .LBB8_95
	s_branch .LBB8_98
.LBB8_96:                               ;   in Loop: Header=BB8_45 Depth=1
	s_branch .LBB8_99
.LBB8_97:                               ;   in Loop: Header=BB8_45 Depth=1
	v_mov_b32_e32 v20, 0
	v_mov_b32_e32 v21, 0
.LBB8_98:                               ;   in Loop: Header=BB8_45 Depth=1
	s_cbranch_execnz .LBB8_100
.LBB8_99:                               ;   in Loop: Header=BB8_45 Depth=1
	global_load_dwordx2 v[20:21], v26, s[6:7]
.LBB8_100:                              ;   in Loop: Header=BB8_45 Depth=1
	v_readfirstlane_b32 s6, v43
	v_mov_b32_e32 v6, 0
	v_mov_b32_e32 v7, 0
	v_cmp_eq_u32_e64 s[6:7], s6, v43
	s_and_saveexec_b64 s[18:19], s[6:7]
	s_cbranch_execz .LBB8_106
; %bb.101:                              ;   in Loop: Header=BB8_45 Depth=1
	global_load_dwordx2 v[24:25], v26, s[50:51] offset:24 glc
	s_waitcnt vmcnt(0)
	buffer_wbinvl1_vol
	global_load_dwordx2 v[6:7], v26, s[50:51] offset:40
	global_load_dwordx2 v[22:23], v26, s[50:51]
	s_waitcnt vmcnt(1)
	v_and_b32_e32 v6, v6, v24
	v_and_b32_e32 v7, v7, v25
	v_mul_lo_u32 v7, v7, 24
	v_mul_hi_u32 v27, v6, 24
	v_mul_lo_u32 v6, v6, 24
	v_add_u32_e32 v7, v27, v7
	s_waitcnt vmcnt(0)
	v_add_co_u32_e32 v6, vcc, v22, v6
	v_addc_co_u32_e32 v7, vcc, v23, v7, vcc
	global_load_dwordx2 v[22:23], v[6:7], off glc
	s_waitcnt vmcnt(0)
	global_atomic_cmpswap_x2 v[6:7], v26, v[22:25], s[50:51] offset:24 glc
	s_waitcnt vmcnt(0)
	buffer_wbinvl1_vol
	v_cmp_ne_u64_e32 vcc, v[6:7], v[24:25]
	s_and_saveexec_b64 s[20:21], vcc
	s_cbranch_execz .LBB8_105
; %bb.102:                              ;   in Loop: Header=BB8_45 Depth=1
	s_mov_b64 s[22:23], 0
.LBB8_103:                              ;   Parent Loop BB8_45 Depth=1
                                        ; =>  This Inner Loop Header: Depth=2
	s_sleep 1
	global_load_dwordx2 v[22:23], v26, s[50:51] offset:40
	global_load_dwordx2 v[27:28], v26, s[50:51]
	v_mov_b32_e32 v25, v7
	v_mov_b32_e32 v24, v6
	s_waitcnt vmcnt(1)
	v_and_b32_e32 v6, v22, v24
	s_waitcnt vmcnt(0)
	v_mad_u64_u32 v[6:7], s[24:25], v6, 24, v[27:28]
	v_and_b32_e32 v22, v23, v25
	v_mad_u64_u32 v[22:23], s[24:25], v22, 24, v[7:8]
	v_mov_b32_e32 v7, v22
	global_load_dwordx2 v[22:23], v[6:7], off glc
	s_waitcnt vmcnt(0)
	global_atomic_cmpswap_x2 v[6:7], v26, v[22:25], s[50:51] offset:24 glc
	s_waitcnt vmcnt(0)
	buffer_wbinvl1_vol
	v_cmp_eq_u64_e32 vcc, v[6:7], v[24:25]
	s_or_b64 s[22:23], vcc, s[22:23]
	s_andn2_b64 exec, exec, s[22:23]
	s_cbranch_execnz .LBB8_103
; %bb.104:                              ;   in Loop: Header=BB8_45 Depth=1
	s_or_b64 exec, exec, s[22:23]
.LBB8_105:                              ;   in Loop: Header=BB8_45 Depth=1
	s_or_b64 exec, exec, s[20:21]
.LBB8_106:                              ;   in Loop: Header=BB8_45 Depth=1
	s_or_b64 exec, exec, s[18:19]
	global_load_dwordx2 v[27:28], v26, s[50:51] offset:40
	global_load_dwordx4 v[22:25], v26, s[50:51]
	v_readfirstlane_b32 s18, v6
	v_readfirstlane_b32 s19, v7
	s_mov_b64 s[22:23], exec
	s_waitcnt vmcnt(1)
	v_readfirstlane_b32 s20, v27
	v_readfirstlane_b32 s21, v28
	s_and_b64 s[20:21], s[18:19], s[20:21]
	s_mul_i32 s11, s21, 24
	s_mul_hi_u32 s24, s20, 24
	s_mul_i32 s25, s20, 24
	s_add_i32 s11, s24, s11
	v_mov_b32_e32 v6, s11
	s_waitcnt vmcnt(0)
	v_add_co_u32_e32 v27, vcc, s25, v22
	v_addc_co_u32_e32 v28, vcc, v23, v6, vcc
	s_and_saveexec_b64 s[24:25], s[6:7]
	s_cbranch_execz .LBB8_108
; %bb.107:                              ;   in Loop: Header=BB8_45 Depth=1
	v_mov_b32_e32 v6, s22
	v_mov_b32_e32 v7, s23
	global_store_dwordx4 v[27:28], v[6:9], off offset:8
.LBB8_108:                              ;   in Loop: Header=BB8_45 Depth=1
	s_or_b64 exec, exec, s[24:25]
	v_cmp_gt_u64_e64 vcc, s[14:15], 56
	v_or_b32_e32 v6, 0, v1
	v_cndmask_b32_e32 v1, v6, v1, vcc
	v_or_b32_e32 v6, v0, v29
	s_lshl_b32 s11, s16, 2
	s_lshl_b64 s[20:21], s[20:21], 12
	v_cndmask_b32_e32 v0, v6, v0, vcc
	s_add_i32 s11, s11, 28
	v_mov_b32_e32 v6, s21
	v_add_co_u32_e32 v24, vcc, s20, v24
	s_and_b32 s11, s11, 0x1e0
	v_and_b32_e32 v0, 0xffffff1f, v0
	v_addc_co_u32_e32 v30, vcc, v25, v6, vcc
	v_or_b32_e32 v0, s11, v0
	v_readfirstlane_b32 s20, v24
	v_readfirstlane_b32 s21, v30
	s_nop 4
	global_store_dwordx4 v42, v[0:3], s[20:21]
	global_store_dwordx4 v42, v[10:13], s[20:21] offset:16
	global_store_dwordx4 v42, v[14:17], s[20:21] offset:32
	;; [unrolled: 1-line block ×3, first 2 shown]
	s_and_saveexec_b64 s[20:21], s[6:7]
	s_cbranch_execz .LBB8_116
; %bb.109:                              ;   in Loop: Header=BB8_45 Depth=1
	global_load_dwordx2 v[12:13], v26, s[50:51] offset:32 glc
	global_load_dwordx2 v[0:1], v26, s[50:51] offset:40
	v_mov_b32_e32 v10, s18
	v_mov_b32_e32 v11, s19
	s_waitcnt vmcnt(0)
	v_readfirstlane_b32 s22, v0
	v_readfirstlane_b32 s23, v1
	s_and_b64 s[22:23], s[22:23], s[18:19]
	s_mul_i32 s11, s23, 24
	s_mul_hi_u32 s23, s22, 24
	s_mul_i32 s22, s22, 24
	s_add_i32 s11, s23, s11
	v_mov_b32_e32 v0, s11
	v_add_co_u32_e32 v6, vcc, s22, v22
	v_addc_co_u32_e32 v7, vcc, v23, v0, vcc
	global_store_dwordx2 v[6:7], v[12:13], off
	s_waitcnt vmcnt(0)
	global_atomic_cmpswap_x2 v[2:3], v26, v[10:13], s[50:51] offset:32 glc
	s_waitcnt vmcnt(0)
	v_cmp_ne_u64_e32 vcc, v[2:3], v[12:13]
	s_and_saveexec_b64 s[22:23], vcc
	s_cbranch_execz .LBB8_112
; %bb.110:                              ;   in Loop: Header=BB8_45 Depth=1
	s_mov_b64 s[24:25], 0
.LBB8_111:                              ;   Parent Loop BB8_45 Depth=1
                                        ; =>  This Inner Loop Header: Depth=2
	s_sleep 1
	global_store_dwordx2 v[6:7], v[2:3], off
	v_mov_b32_e32 v0, s18
	v_mov_b32_e32 v1, s19
	s_waitcnt vmcnt(0)
	global_atomic_cmpswap_x2 v[0:1], v26, v[0:3], s[50:51] offset:32 glc
	s_waitcnt vmcnt(0)
	v_cmp_eq_u64_e32 vcc, v[0:1], v[2:3]
	v_mov_b32_e32 v3, v1
	s_or_b64 s[24:25], vcc, s[24:25]
	v_mov_b32_e32 v2, v0
	s_andn2_b64 exec, exec, s[24:25]
	s_cbranch_execnz .LBB8_111
.LBB8_112:                              ;   in Loop: Header=BB8_45 Depth=1
	s_or_b64 exec, exec, s[22:23]
	global_load_dwordx2 v[0:1], v26, s[50:51] offset:16
	s_mov_b64 s[24:25], exec
	v_mbcnt_lo_u32_b32 v2, s24, 0
	v_mbcnt_hi_u32_b32 v2, s25, v2
	v_cmp_eq_u32_e32 vcc, 0, v2
	s_and_saveexec_b64 s[22:23], vcc
	s_cbranch_execz .LBB8_114
; %bb.113:                              ;   in Loop: Header=BB8_45 Depth=1
	s_bcnt1_i32_b64 s11, s[24:25]
	v_mov_b32_e32 v25, s11
	s_waitcnt vmcnt(0)
	global_atomic_add_x2 v[0:1], v[25:26], off offset:8
.LBB8_114:                              ;   in Loop: Header=BB8_45 Depth=1
	s_or_b64 exec, exec, s[22:23]
	s_waitcnt vmcnt(0)
	global_load_dwordx2 v[2:3], v[0:1], off offset:16
	s_waitcnt vmcnt(0)
	v_cmp_eq_u64_e32 vcc, 0, v[2:3]
	s_cbranch_vccnz .LBB8_116
; %bb.115:                              ;   in Loop: Header=BB8_45 Depth=1
	global_load_dword v25, v[0:1], off offset:24
	s_waitcnt vmcnt(0)
	v_and_b32_e32 v0, 0xffffff, v25
	v_readfirstlane_b32 m0, v0
	global_store_dwordx2 v[2:3], v[25:26], off
	s_sendmsg sendmsg(MSG_INTERRUPT)
.LBB8_116:                              ;   in Loop: Header=BB8_45 Depth=1
	s_or_b64 exec, exec, s[20:21]
	v_add_co_u32_e32 v0, vcc, v24, v42
	v_addc_co_u32_e32 v1, vcc, 0, v30, vcc
	s_branch .LBB8_120
.LBB8_117:                              ;   in Loop: Header=BB8_120 Depth=2
	s_or_b64 exec, exec, s[20:21]
	v_readfirstlane_b32 s11, v2
	s_cmp_eq_u32 s11, 0
	s_cbranch_scc1 .LBB8_119
; %bb.118:                              ;   in Loop: Header=BB8_120 Depth=2
	s_sleep 1
	s_cbranch_execnz .LBB8_120
	s_branch .LBB8_122
.LBB8_119:                              ;   in Loop: Header=BB8_45 Depth=1
	s_branch .LBB8_122
.LBB8_120:                              ;   Parent Loop BB8_45 Depth=1
                                        ; =>  This Inner Loop Header: Depth=2
	v_mov_b32_e32 v2, 1
	s_and_saveexec_b64 s[20:21], s[6:7]
	s_cbranch_execz .LBB8_117
; %bb.121:                              ;   in Loop: Header=BB8_120 Depth=2
	global_load_dword v2, v[27:28], off offset:20 glc
	s_waitcnt vmcnt(0)
	buffer_wbinvl1_vol
	v_and_b32_e32 v2, 1, v2
	s_branch .LBB8_117
.LBB8_122:                              ;   in Loop: Header=BB8_45 Depth=1
	global_load_dwordx4 v[0:3], v[0:1], off
	s_and_saveexec_b64 s[20:21], s[6:7]
	s_cbranch_execz .LBB8_44
; %bb.123:                              ;   in Loop: Header=BB8_45 Depth=1
	global_load_dwordx2 v[2:3], v26, s[50:51] offset:40
	global_load_dwordx2 v[6:7], v26, s[50:51] offset:24 glc
	global_load_dwordx2 v[13:14], v26, s[50:51]
	v_mov_b32_e32 v11, s19
	s_waitcnt vmcnt(2)
	v_add_co_u32_e32 v12, vcc, 1, v2
	v_addc_co_u32_e32 v15, vcc, 0, v3, vcc
	v_add_co_u32_e32 v10, vcc, s18, v12
	v_addc_co_u32_e32 v11, vcc, v15, v11, vcc
	v_cmp_eq_u64_e32 vcc, 0, v[10:11]
	v_cndmask_b32_e32 v11, v11, v15, vcc
	v_cndmask_b32_e32 v10, v10, v12, vcc
	v_and_b32_e32 v3, v11, v3
	v_and_b32_e32 v2, v10, v2
	v_mul_lo_u32 v3, v3, 24
	v_mul_hi_u32 v15, v2, 24
	v_mul_lo_u32 v2, v2, 24
	s_waitcnt vmcnt(1)
	v_mov_b32_e32 v12, v6
	v_add_u32_e32 v3, v15, v3
	s_waitcnt vmcnt(0)
	v_add_co_u32_e32 v2, vcc, v13, v2
	v_addc_co_u32_e32 v3, vcc, v14, v3, vcc
	global_store_dwordx2 v[2:3], v[6:7], off
	v_mov_b32_e32 v13, v7
	s_waitcnt vmcnt(0)
	global_atomic_cmpswap_x2 v[12:13], v26, v[10:13], s[50:51] offset:24 glc
	s_waitcnt vmcnt(0)
	v_cmp_ne_u64_e32 vcc, v[12:13], v[6:7]
	s_and_b64 exec, exec, vcc
	s_cbranch_execz .LBB8_44
; %bb.124:                              ;   in Loop: Header=BB8_45 Depth=1
	s_mov_b64 s[6:7], 0
.LBB8_125:                              ;   Parent Loop BB8_45 Depth=1
                                        ; =>  This Inner Loop Header: Depth=2
	s_sleep 1
	global_store_dwordx2 v[2:3], v[12:13], off
	s_waitcnt vmcnt(0)
	global_atomic_cmpswap_x2 v[6:7], v26, v[10:13], s[50:51] offset:24 glc
	s_waitcnt vmcnt(0)
	v_cmp_eq_u64_e32 vcc, v[6:7], v[12:13]
	v_mov_b32_e32 v13, v7
	s_or_b64 s[6:7], vcc, s[6:7]
	v_mov_b32_e32 v12, v6
	s_andn2_b64 exec, exec, s[6:7]
	s_cbranch_execnz .LBB8_125
	s_branch .LBB8_44
.LBB8_126:
	s_mov_b64 s[6:7], 0
	s_branch .LBB8_128
.LBB8_127:
	s_mov_b64 s[6:7], -1
                                        ; implicit-def: $vgpr0_vgpr1
.LBB8_128:
	s_and_b64 vcc, exec, s[6:7]
	s_cbranch_vccz .LBB8_155
; %bb.129:
	v_readfirstlane_b32 s6, v43
	v_mov_b32_e32 v7, 0
	v_mov_b32_e32 v8, 0
	v_cmp_eq_u32_e64 s[6:7], s6, v43
	s_and_saveexec_b64 s[12:13], s[6:7]
	s_cbranch_execz .LBB8_135
; %bb.130:
	s_waitcnt vmcnt(0)
	v_mov_b32_e32 v0, 0
	global_load_dwordx2 v[9:10], v0, s[50:51] offset:24 glc
	s_waitcnt vmcnt(0)
	buffer_wbinvl1_vol
	global_load_dwordx2 v[1:2], v0, s[50:51] offset:40
	global_load_dwordx2 v[6:7], v0, s[50:51]
	s_waitcnt vmcnt(1)
	v_and_b32_e32 v1, v1, v9
	v_and_b32_e32 v2, v2, v10
	v_mul_lo_u32 v2, v2, 24
	v_mul_hi_u32 v3, v1, 24
	v_mul_lo_u32 v1, v1, 24
	v_add_u32_e32 v2, v3, v2
	s_waitcnt vmcnt(0)
	v_add_co_u32_e32 v1, vcc, v6, v1
	v_addc_co_u32_e32 v2, vcc, v7, v2, vcc
	global_load_dwordx2 v[7:8], v[1:2], off glc
	s_waitcnt vmcnt(0)
	global_atomic_cmpswap_x2 v[7:8], v0, v[7:10], s[50:51] offset:24 glc
	s_waitcnt vmcnt(0)
	buffer_wbinvl1_vol
	v_cmp_ne_u64_e32 vcc, v[7:8], v[9:10]
	s_and_saveexec_b64 s[14:15], vcc
	s_cbranch_execz .LBB8_134
; %bb.131:
	s_mov_b64 s[16:17], 0
.LBB8_132:                              ; =>This Inner Loop Header: Depth=1
	s_sleep 1
	global_load_dwordx2 v[1:2], v0, s[50:51] offset:40
	global_load_dwordx2 v[11:12], v0, s[50:51]
	v_mov_b32_e32 v10, v8
	v_mov_b32_e32 v9, v7
	s_waitcnt vmcnt(1)
	v_and_b32_e32 v1, v1, v9
	s_waitcnt vmcnt(0)
	v_mad_u64_u32 v[6:7], s[18:19], v1, 24, v[11:12]
	v_and_b32_e32 v2, v2, v10
	v_mov_b32_e32 v1, v7
	v_mad_u64_u32 v[1:2], s[18:19], v2, 24, v[1:2]
	v_mov_b32_e32 v7, v1
	global_load_dwordx2 v[7:8], v[6:7], off glc
	s_waitcnt vmcnt(0)
	global_atomic_cmpswap_x2 v[7:8], v0, v[7:10], s[50:51] offset:24 glc
	s_waitcnt vmcnt(0)
	buffer_wbinvl1_vol
	v_cmp_eq_u64_e32 vcc, v[7:8], v[9:10]
	s_or_b64 s[16:17], vcc, s[16:17]
	s_andn2_b64 exec, exec, s[16:17]
	s_cbranch_execnz .LBB8_132
; %bb.133:
	s_or_b64 exec, exec, s[16:17]
.LBB8_134:
	s_or_b64 exec, exec, s[14:15]
.LBB8_135:
	s_or_b64 exec, exec, s[12:13]
	v_mov_b32_e32 v6, 0
	global_load_dwordx2 v[9:10], v6, s[50:51] offset:40
	global_load_dwordx4 v[0:3], v6, s[50:51]
	v_readfirstlane_b32 s12, v7
	v_readfirstlane_b32 s13, v8
	s_mov_b64 s[14:15], exec
	s_waitcnt vmcnt(1)
	v_readfirstlane_b32 s16, v9
	v_readfirstlane_b32 s17, v10
	s_and_b64 s[16:17], s[12:13], s[16:17]
	s_mul_i32 s11, s17, 24
	s_mul_hi_u32 s18, s16, 24
	s_mul_i32 s19, s16, 24
	s_add_i32 s11, s18, s11
	v_mov_b32_e32 v7, s11
	s_waitcnt vmcnt(0)
	v_add_co_u32_e32 v8, vcc, s19, v0
	v_addc_co_u32_e32 v9, vcc, v1, v7, vcc
	s_and_saveexec_b64 s[18:19], s[6:7]
	s_cbranch_execz .LBB8_137
; %bb.136:
	v_mov_b32_e32 v10, s14
	v_mov_b32_e32 v11, s15
	;; [unrolled: 1-line block ×4, first 2 shown]
	global_store_dwordx4 v[8:9], v[10:13], off offset:8
.LBB8_137:
	s_or_b64 exec, exec, s[18:19]
	s_lshl_b64 s[14:15], s[16:17], 12
	v_mov_b32_e32 v7, s15
	v_add_co_u32_e32 v2, vcc, s14, v2
	v_addc_co_u32_e32 v3, vcc, v3, v7, vcc
	s_movk_i32 s11, 0xff1f
	v_and_or_b32 v4, v4, s11, 32
	v_add_co_u32_e32 v10, vcc, v2, v42
	s_mov_b32 s16, 0
	v_mov_b32_e32 v7, v6
	v_readfirstlane_b32 s14, v2
	v_readfirstlane_b32 s15, v3
	v_addc_co_u32_e32 v11, vcc, 0, v3, vcc
	s_mov_b32 s17, s16
	s_mov_b32 s18, s16
	;; [unrolled: 1-line block ×3, first 2 shown]
	s_nop 0
	global_store_dwordx4 v42, v[4:7], s[14:15]
	v_mov_b32_e32 v2, s16
	v_mov_b32_e32 v3, s17
	;; [unrolled: 1-line block ×4, first 2 shown]
	global_store_dwordx4 v42, v[2:5], s[14:15] offset:16
	global_store_dwordx4 v42, v[2:5], s[14:15] offset:32
	;; [unrolled: 1-line block ×3, first 2 shown]
	s_and_saveexec_b64 s[14:15], s[6:7]
	s_cbranch_execz .LBB8_145
; %bb.138:
	v_mov_b32_e32 v6, 0
	global_load_dwordx2 v[14:15], v6, s[50:51] offset:32 glc
	global_load_dwordx2 v[2:3], v6, s[50:51] offset:40
	v_mov_b32_e32 v12, s12
	v_mov_b32_e32 v13, s13
	s_waitcnt vmcnt(0)
	v_readfirstlane_b32 s16, v2
	v_readfirstlane_b32 s17, v3
	s_and_b64 s[16:17], s[16:17], s[12:13]
	s_mul_i32 s11, s17, 24
	s_mul_hi_u32 s17, s16, 24
	s_mul_i32 s16, s16, 24
	s_add_i32 s11, s17, s11
	v_mov_b32_e32 v2, s11
	v_add_co_u32_e32 v4, vcc, s16, v0
	v_addc_co_u32_e32 v5, vcc, v1, v2, vcc
	global_store_dwordx2 v[4:5], v[14:15], off
	s_waitcnt vmcnt(0)
	global_atomic_cmpswap_x2 v[2:3], v6, v[12:15], s[50:51] offset:32 glc
	s_waitcnt vmcnt(0)
	v_cmp_ne_u64_e32 vcc, v[2:3], v[14:15]
	s_and_saveexec_b64 s[16:17], vcc
	s_cbranch_execz .LBB8_141
; %bb.139:
	s_mov_b64 s[18:19], 0
.LBB8_140:                              ; =>This Inner Loop Header: Depth=1
	s_sleep 1
	global_store_dwordx2 v[4:5], v[2:3], off
	v_mov_b32_e32 v0, s12
	v_mov_b32_e32 v1, s13
	s_waitcnt vmcnt(0)
	global_atomic_cmpswap_x2 v[0:1], v6, v[0:3], s[50:51] offset:32 glc
	s_waitcnt vmcnt(0)
	v_cmp_eq_u64_e32 vcc, v[0:1], v[2:3]
	v_mov_b32_e32 v3, v1
	s_or_b64 s[18:19], vcc, s[18:19]
	v_mov_b32_e32 v2, v0
	s_andn2_b64 exec, exec, s[18:19]
	s_cbranch_execnz .LBB8_140
.LBB8_141:
	s_or_b64 exec, exec, s[16:17]
	v_mov_b32_e32 v3, 0
	global_load_dwordx2 v[0:1], v3, s[50:51] offset:16
	s_mov_b64 s[16:17], exec
	v_mbcnt_lo_u32_b32 v2, s16, 0
	v_mbcnt_hi_u32_b32 v2, s17, v2
	v_cmp_eq_u32_e32 vcc, 0, v2
	s_and_saveexec_b64 s[18:19], vcc
	s_cbranch_execz .LBB8_143
; %bb.142:
	s_bcnt1_i32_b64 s11, s[16:17]
	v_mov_b32_e32 v2, s11
	s_waitcnt vmcnt(0)
	global_atomic_add_x2 v[0:1], v[2:3], off offset:8
.LBB8_143:
	s_or_b64 exec, exec, s[18:19]
	s_waitcnt vmcnt(0)
	global_load_dwordx2 v[2:3], v[0:1], off offset:16
	s_waitcnt vmcnt(0)
	v_cmp_eq_u64_e32 vcc, 0, v[2:3]
	s_cbranch_vccnz .LBB8_145
; %bb.144:
	global_load_dword v0, v[0:1], off offset:24
	v_mov_b32_e32 v1, 0
	s_waitcnt vmcnt(0)
	global_store_dwordx2 v[2:3], v[0:1], off
	v_and_b32_e32 v0, 0xffffff, v0
	v_readfirstlane_b32 m0, v0
	s_sendmsg sendmsg(MSG_INTERRUPT)
.LBB8_145:
	s_or_b64 exec, exec, s[14:15]
	s_branch .LBB8_149
.LBB8_146:                              ;   in Loop: Header=BB8_149 Depth=1
	s_or_b64 exec, exec, s[14:15]
	v_readfirstlane_b32 s11, v0
	s_cmp_eq_u32 s11, 0
	s_cbranch_scc1 .LBB8_148
; %bb.147:                              ;   in Loop: Header=BB8_149 Depth=1
	s_sleep 1
	s_cbranch_execnz .LBB8_149
	s_branch .LBB8_151
.LBB8_148:
	s_branch .LBB8_151
.LBB8_149:                              ; =>This Inner Loop Header: Depth=1
	v_mov_b32_e32 v0, 1
	s_and_saveexec_b64 s[14:15], s[6:7]
	s_cbranch_execz .LBB8_146
; %bb.150:                              ;   in Loop: Header=BB8_149 Depth=1
	global_load_dword v0, v[8:9], off offset:20 glc
	s_waitcnt vmcnt(0)
	buffer_wbinvl1_vol
	v_and_b32_e32 v0, 1, v0
	s_branch .LBB8_146
.LBB8_151:
	global_load_dwordx2 v[0:1], v[10:11], off
	s_and_saveexec_b64 s[14:15], s[6:7]
	s_cbranch_execz .LBB8_154
; %bb.152:
	v_mov_b32_e32 v8, 0
	global_load_dwordx2 v[4:5], v8, s[50:51] offset:40
	global_load_dwordx2 v[9:10], v8, s[50:51] offset:24 glc
	global_load_dwordx2 v[6:7], v8, s[50:51]
	v_mov_b32_e32 v3, s13
	s_mov_b64 s[6:7], 0
	s_waitcnt vmcnt(2)
	v_add_co_u32_e32 v11, vcc, 1, v4
	v_addc_co_u32_e32 v12, vcc, 0, v5, vcc
	v_add_co_u32_e32 v2, vcc, s12, v11
	v_addc_co_u32_e32 v3, vcc, v12, v3, vcc
	v_cmp_eq_u64_e32 vcc, 0, v[2:3]
	v_cndmask_b32_e32 v3, v3, v12, vcc
	v_cndmask_b32_e32 v2, v2, v11, vcc
	v_and_b32_e32 v5, v3, v5
	v_and_b32_e32 v4, v2, v4
	v_mul_lo_u32 v5, v5, 24
	v_mul_hi_u32 v11, v4, 24
	v_mul_lo_u32 v12, v4, 24
	s_waitcnt vmcnt(1)
	v_mov_b32_e32 v4, v9
	v_add_u32_e32 v5, v11, v5
	s_waitcnt vmcnt(0)
	v_add_co_u32_e32 v6, vcc, v6, v12
	v_addc_co_u32_e32 v7, vcc, v7, v5, vcc
	global_store_dwordx2 v[6:7], v[9:10], off
	v_mov_b32_e32 v5, v10
	s_waitcnt vmcnt(0)
	global_atomic_cmpswap_x2 v[4:5], v8, v[2:5], s[50:51] offset:24 glc
	s_waitcnt vmcnt(0)
	v_cmp_ne_u64_e32 vcc, v[4:5], v[9:10]
	s_and_b64 exec, exec, vcc
	s_cbranch_execz .LBB8_154
.LBB8_153:                              ; =>This Inner Loop Header: Depth=1
	s_sleep 1
	global_store_dwordx2 v[6:7], v[4:5], off
	s_waitcnt vmcnt(0)
	global_atomic_cmpswap_x2 v[9:10], v8, v[2:5], s[50:51] offset:24 glc
	s_waitcnt vmcnt(0)
	v_cmp_eq_u64_e32 vcc, v[9:10], v[4:5]
	v_mov_b32_e32 v4, v9
	s_or_b64 s[6:7], vcc, s[6:7]
	v_mov_b32_e32 v5, v10
	s_andn2_b64 exec, exec, s[6:7]
	s_cbranch_execnz .LBB8_153
.LBB8_154:
	s_or_b64 exec, exec, s[14:15]
.LBB8_155:
	s_getpc_b64 s[12:13]
	s_add_u32 s12, s12, __PRETTY_FUNCTION__._ZL19sort_already_sortedRN8migraphx4test12test_managerE@rel32@lo+4
	s_addc_u32 s13, s13, __PRETTY_FUNCTION__._ZL19sort_already_sortedRN8migraphx4test12test_managerE@rel32@hi+12
	s_cmp_lg_u64 s[12:13], 0
	s_cbranch_scc0 .LBB8_240
; %bb.156:
	s_waitcnt vmcnt(0)
	v_and_b32_e32 v6, -3, v0
	v_mov_b32_e32 v7, v1
	s_mov_b64 s[14:15], 57
	v_mov_b32_e32 v26, 0
	v_mov_b32_e32 v4, 2
	;; [unrolled: 1-line block ×3, first 2 shown]
	s_branch .LBB8_158
.LBB8_157:                              ;   in Loop: Header=BB8_158 Depth=1
	s_or_b64 exec, exec, s[20:21]
	s_sub_u32 s14, s14, s16
	s_subb_u32 s15, s15, s17
	s_add_u32 s12, s12, s16
	s_addc_u32 s13, s13, s17
	s_cmp_lg_u64 s[14:15], 0
	s_cbranch_scc0 .LBB8_239
.LBB8_158:                              ; =>This Loop Header: Depth=1
                                        ;     Child Loop BB8_161 Depth 2
                                        ;     Child Loop BB8_168 Depth 2
	;; [unrolled: 1-line block ×11, first 2 shown]
	v_cmp_lt_u64_e64 s[6:7], s[14:15], 56
	v_cmp_gt_u64_e64 s[18:19], s[14:15], 7
	s_and_b64 s[6:7], s[6:7], exec
	s_cselect_b32 s17, s15, 0
	s_cselect_b32 s16, s14, 56
	s_and_b64 vcc, exec, s[18:19]
	s_cbranch_vccnz .LBB8_163
; %bb.159:                              ;   in Loop: Header=BB8_158 Depth=1
	s_waitcnt vmcnt(0)
	v_mov_b32_e32 v8, 0
	s_cmp_eq_u64 s[14:15], 0
	v_mov_b32_e32 v9, 0
	s_mov_b64 s[6:7], 0
	s_cbranch_scc1 .LBB8_162
; %bb.160:                              ;   in Loop: Header=BB8_158 Depth=1
	v_mov_b32_e32 v8, 0
	s_lshl_b64 s[18:19], s[16:17], 3
	s_mov_b64 s[20:21], 0
	v_mov_b32_e32 v9, 0
	s_mov_b64 s[22:23], s[12:13]
.LBB8_161:                              ;   Parent Loop BB8_158 Depth=1
                                        ; =>  This Inner Loop Header: Depth=2
	global_load_ubyte v2, v26, s[22:23]
	s_waitcnt vmcnt(0)
	v_and_b32_e32 v25, 0xffff, v2
	v_lshlrev_b64 v[2:3], s20, v[25:26]
	s_add_u32 s20, s20, 8
	s_addc_u32 s21, s21, 0
	s_add_u32 s22, s22, 1
	s_addc_u32 s23, s23, 0
	v_or_b32_e32 v8, v2, v8
	s_cmp_lg_u32 s18, s20
	v_or_b32_e32 v9, v3, v9
	s_cbranch_scc1 .LBB8_161
.LBB8_162:                              ;   in Loop: Header=BB8_158 Depth=1
	s_mov_b32 s11, 0
	s_andn2_b64 vcc, exec, s[6:7]
	s_mov_b64 s[6:7], s[12:13]
	s_cbranch_vccz .LBB8_164
	s_branch .LBB8_165
.LBB8_163:                              ;   in Loop: Header=BB8_158 Depth=1
                                        ; implicit-def: $sgpr11
	s_mov_b64 s[6:7], s[12:13]
.LBB8_164:                              ;   in Loop: Header=BB8_158 Depth=1
	global_load_dwordx2 v[8:9], v26, s[12:13]
	s_add_i32 s11, s16, -8
	s_add_u32 s6, s12, 8
	s_addc_u32 s7, s13, 0
.LBB8_165:                              ;   in Loop: Header=BB8_158 Depth=1
	s_cmp_gt_u32 s11, 7
	s_cbranch_scc1 .LBB8_169
; %bb.166:                              ;   in Loop: Header=BB8_158 Depth=1
	s_cmp_eq_u32 s11, 0
	s_cbranch_scc1 .LBB8_170
; %bb.167:                              ;   in Loop: Header=BB8_158 Depth=1
	v_mov_b32_e32 v10, 0
	s_mov_b64 s[18:19], 0
	v_mov_b32_e32 v11, 0
	s_mov_b64 s[20:21], 0
.LBB8_168:                              ;   Parent Loop BB8_158 Depth=1
                                        ; =>  This Inner Loop Header: Depth=2
	s_add_u32 s22, s6, s20
	s_addc_u32 s23, s7, s21
	global_load_ubyte v2, v26, s[22:23]
	s_add_u32 s20, s20, 1
	s_addc_u32 s21, s21, 0
	s_waitcnt vmcnt(0)
	v_and_b32_e32 v25, 0xffff, v2
	v_lshlrev_b64 v[2:3], s18, v[25:26]
	s_add_u32 s18, s18, 8
	s_addc_u32 s19, s19, 0
	v_or_b32_e32 v10, v2, v10
	s_cmp_lg_u32 s11, s20
	v_or_b32_e32 v11, v3, v11
	s_cbranch_scc1 .LBB8_168
	s_branch .LBB8_171
.LBB8_169:                              ;   in Loop: Header=BB8_158 Depth=1
                                        ; implicit-def: $vgpr10_vgpr11
                                        ; implicit-def: $sgpr22
	s_branch .LBB8_172
.LBB8_170:                              ;   in Loop: Header=BB8_158 Depth=1
	v_mov_b32_e32 v10, 0
	v_mov_b32_e32 v11, 0
.LBB8_171:                              ;   in Loop: Header=BB8_158 Depth=1
	s_mov_b32 s22, 0
	s_cbranch_execnz .LBB8_173
.LBB8_172:                              ;   in Loop: Header=BB8_158 Depth=1
	global_load_dwordx2 v[10:11], v26, s[6:7]
	s_add_i32 s22, s11, -8
	s_add_u32 s6, s6, 8
	s_addc_u32 s7, s7, 0
.LBB8_173:                              ;   in Loop: Header=BB8_158 Depth=1
	s_cmp_gt_u32 s22, 7
	s_cbranch_scc1 .LBB8_177
; %bb.174:                              ;   in Loop: Header=BB8_158 Depth=1
	s_cmp_eq_u32 s22, 0
	s_cbranch_scc1 .LBB8_178
; %bb.175:                              ;   in Loop: Header=BB8_158 Depth=1
	v_mov_b32_e32 v12, 0
	s_mov_b64 s[18:19], 0
	v_mov_b32_e32 v13, 0
	s_mov_b64 s[20:21], 0
.LBB8_176:                              ;   Parent Loop BB8_158 Depth=1
                                        ; =>  This Inner Loop Header: Depth=2
	s_add_u32 s24, s6, s20
	s_addc_u32 s25, s7, s21
	global_load_ubyte v2, v26, s[24:25]
	s_add_u32 s20, s20, 1
	s_addc_u32 s21, s21, 0
	s_waitcnt vmcnt(0)
	v_and_b32_e32 v25, 0xffff, v2
	v_lshlrev_b64 v[2:3], s18, v[25:26]
	s_add_u32 s18, s18, 8
	s_addc_u32 s19, s19, 0
	v_or_b32_e32 v12, v2, v12
	s_cmp_lg_u32 s22, s20
	v_or_b32_e32 v13, v3, v13
	s_cbranch_scc1 .LBB8_176
	s_branch .LBB8_179
.LBB8_177:                              ;   in Loop: Header=BB8_158 Depth=1
                                        ; implicit-def: $sgpr11
	s_branch .LBB8_180
.LBB8_178:                              ;   in Loop: Header=BB8_158 Depth=1
	v_mov_b32_e32 v12, 0
	v_mov_b32_e32 v13, 0
.LBB8_179:                              ;   in Loop: Header=BB8_158 Depth=1
	s_mov_b32 s11, 0
	s_cbranch_execnz .LBB8_181
.LBB8_180:                              ;   in Loop: Header=BB8_158 Depth=1
	global_load_dwordx2 v[12:13], v26, s[6:7]
	s_add_i32 s11, s22, -8
	s_add_u32 s6, s6, 8
	s_addc_u32 s7, s7, 0
.LBB8_181:                              ;   in Loop: Header=BB8_158 Depth=1
	s_cmp_gt_u32 s11, 7
	s_cbranch_scc1 .LBB8_185
; %bb.182:                              ;   in Loop: Header=BB8_158 Depth=1
	s_cmp_eq_u32 s11, 0
	s_cbranch_scc1 .LBB8_186
; %bb.183:                              ;   in Loop: Header=BB8_158 Depth=1
	v_mov_b32_e32 v14, 0
	s_mov_b64 s[18:19], 0
	v_mov_b32_e32 v15, 0
	s_mov_b64 s[20:21], 0
.LBB8_184:                              ;   Parent Loop BB8_158 Depth=1
                                        ; =>  This Inner Loop Header: Depth=2
	s_add_u32 s22, s6, s20
	s_addc_u32 s23, s7, s21
	global_load_ubyte v2, v26, s[22:23]
	s_add_u32 s20, s20, 1
	s_addc_u32 s21, s21, 0
	s_waitcnt vmcnt(0)
	v_and_b32_e32 v25, 0xffff, v2
	v_lshlrev_b64 v[2:3], s18, v[25:26]
	s_add_u32 s18, s18, 8
	s_addc_u32 s19, s19, 0
	v_or_b32_e32 v14, v2, v14
	s_cmp_lg_u32 s11, s20
	v_or_b32_e32 v15, v3, v15
	s_cbranch_scc1 .LBB8_184
	s_branch .LBB8_187
.LBB8_185:                              ;   in Loop: Header=BB8_158 Depth=1
                                        ; implicit-def: $vgpr14_vgpr15
                                        ; implicit-def: $sgpr22
	s_branch .LBB8_188
.LBB8_186:                              ;   in Loop: Header=BB8_158 Depth=1
	v_mov_b32_e32 v14, 0
	v_mov_b32_e32 v15, 0
.LBB8_187:                              ;   in Loop: Header=BB8_158 Depth=1
	s_mov_b32 s22, 0
	s_cbranch_execnz .LBB8_189
.LBB8_188:                              ;   in Loop: Header=BB8_158 Depth=1
	global_load_dwordx2 v[14:15], v26, s[6:7]
	s_add_i32 s22, s11, -8
	s_add_u32 s6, s6, 8
	s_addc_u32 s7, s7, 0
.LBB8_189:                              ;   in Loop: Header=BB8_158 Depth=1
	s_cmp_gt_u32 s22, 7
	s_cbranch_scc1 .LBB8_193
; %bb.190:                              ;   in Loop: Header=BB8_158 Depth=1
	s_cmp_eq_u32 s22, 0
	s_cbranch_scc1 .LBB8_194
; %bb.191:                              ;   in Loop: Header=BB8_158 Depth=1
	v_mov_b32_e32 v16, 0
	s_mov_b64 s[18:19], 0
	v_mov_b32_e32 v17, 0
	s_mov_b64 s[20:21], 0
.LBB8_192:                              ;   Parent Loop BB8_158 Depth=1
                                        ; =>  This Inner Loop Header: Depth=2
	s_add_u32 s24, s6, s20
	s_addc_u32 s25, s7, s21
	global_load_ubyte v2, v26, s[24:25]
	s_add_u32 s20, s20, 1
	s_addc_u32 s21, s21, 0
	s_waitcnt vmcnt(0)
	v_and_b32_e32 v25, 0xffff, v2
	v_lshlrev_b64 v[2:3], s18, v[25:26]
	s_add_u32 s18, s18, 8
	s_addc_u32 s19, s19, 0
	v_or_b32_e32 v16, v2, v16
	s_cmp_lg_u32 s22, s20
	v_or_b32_e32 v17, v3, v17
	s_cbranch_scc1 .LBB8_192
	s_branch .LBB8_195
.LBB8_193:                              ;   in Loop: Header=BB8_158 Depth=1
                                        ; implicit-def: $sgpr11
	s_branch .LBB8_196
.LBB8_194:                              ;   in Loop: Header=BB8_158 Depth=1
	v_mov_b32_e32 v16, 0
	v_mov_b32_e32 v17, 0
.LBB8_195:                              ;   in Loop: Header=BB8_158 Depth=1
	s_mov_b32 s11, 0
	s_cbranch_execnz .LBB8_197
.LBB8_196:                              ;   in Loop: Header=BB8_158 Depth=1
	global_load_dwordx2 v[16:17], v26, s[6:7]
	s_add_i32 s11, s22, -8
	s_add_u32 s6, s6, 8
	s_addc_u32 s7, s7, 0
.LBB8_197:                              ;   in Loop: Header=BB8_158 Depth=1
	s_cmp_gt_u32 s11, 7
	s_cbranch_scc1 .LBB8_201
; %bb.198:                              ;   in Loop: Header=BB8_158 Depth=1
	s_cmp_eq_u32 s11, 0
	s_cbranch_scc1 .LBB8_202
; %bb.199:                              ;   in Loop: Header=BB8_158 Depth=1
	v_mov_b32_e32 v18, 0
	s_mov_b64 s[18:19], 0
	v_mov_b32_e32 v19, 0
	s_mov_b64 s[20:21], 0
.LBB8_200:                              ;   Parent Loop BB8_158 Depth=1
                                        ; =>  This Inner Loop Header: Depth=2
	s_add_u32 s22, s6, s20
	s_addc_u32 s23, s7, s21
	global_load_ubyte v2, v26, s[22:23]
	s_add_u32 s20, s20, 1
	s_addc_u32 s21, s21, 0
	s_waitcnt vmcnt(0)
	v_and_b32_e32 v25, 0xffff, v2
	v_lshlrev_b64 v[2:3], s18, v[25:26]
	s_add_u32 s18, s18, 8
	s_addc_u32 s19, s19, 0
	v_or_b32_e32 v18, v2, v18
	s_cmp_lg_u32 s11, s20
	v_or_b32_e32 v19, v3, v19
	s_cbranch_scc1 .LBB8_200
	s_branch .LBB8_203
.LBB8_201:                              ;   in Loop: Header=BB8_158 Depth=1
                                        ; implicit-def: $vgpr18_vgpr19
                                        ; implicit-def: $sgpr22
	s_branch .LBB8_204
.LBB8_202:                              ;   in Loop: Header=BB8_158 Depth=1
	v_mov_b32_e32 v18, 0
	v_mov_b32_e32 v19, 0
.LBB8_203:                              ;   in Loop: Header=BB8_158 Depth=1
	s_mov_b32 s22, 0
	s_cbranch_execnz .LBB8_205
.LBB8_204:                              ;   in Loop: Header=BB8_158 Depth=1
	global_load_dwordx2 v[18:19], v26, s[6:7]
	s_add_i32 s22, s11, -8
	s_add_u32 s6, s6, 8
	s_addc_u32 s7, s7, 0
.LBB8_205:                              ;   in Loop: Header=BB8_158 Depth=1
	s_cmp_gt_u32 s22, 7
	s_cbranch_scc1 .LBB8_209
; %bb.206:                              ;   in Loop: Header=BB8_158 Depth=1
	s_cmp_eq_u32 s22, 0
	s_cbranch_scc1 .LBB8_210
; %bb.207:                              ;   in Loop: Header=BB8_158 Depth=1
	v_mov_b32_e32 v20, 0
	s_mov_b64 s[18:19], 0
	v_mov_b32_e32 v21, 0
	s_mov_b64 s[20:21], s[6:7]
.LBB8_208:                              ;   Parent Loop BB8_158 Depth=1
                                        ; =>  This Inner Loop Header: Depth=2
	global_load_ubyte v2, v26, s[20:21]
	s_add_i32 s22, s22, -1
	s_waitcnt vmcnt(0)
	v_and_b32_e32 v25, 0xffff, v2
	v_lshlrev_b64 v[2:3], s18, v[25:26]
	s_add_u32 s18, s18, 8
	s_addc_u32 s19, s19, 0
	s_add_u32 s20, s20, 1
	s_addc_u32 s21, s21, 0
	v_or_b32_e32 v20, v2, v20
	s_cmp_lg_u32 s22, 0
	v_or_b32_e32 v21, v3, v21
	s_cbranch_scc1 .LBB8_208
	s_branch .LBB8_211
.LBB8_209:                              ;   in Loop: Header=BB8_158 Depth=1
	s_branch .LBB8_212
.LBB8_210:                              ;   in Loop: Header=BB8_158 Depth=1
	v_mov_b32_e32 v20, 0
	v_mov_b32_e32 v21, 0
.LBB8_211:                              ;   in Loop: Header=BB8_158 Depth=1
	s_cbranch_execnz .LBB8_213
.LBB8_212:                              ;   in Loop: Header=BB8_158 Depth=1
	global_load_dwordx2 v[20:21], v26, s[6:7]
.LBB8_213:                              ;   in Loop: Header=BB8_158 Depth=1
	v_readfirstlane_b32 s6, v43
	v_mov_b32_e32 v2, 0
	v_mov_b32_e32 v3, 0
	v_cmp_eq_u32_e64 s[6:7], s6, v43
	s_and_saveexec_b64 s[18:19], s[6:7]
	s_cbranch_execz .LBB8_219
; %bb.214:                              ;   in Loop: Header=BB8_158 Depth=1
	global_load_dwordx2 v[24:25], v26, s[50:51] offset:24 glc
	s_waitcnt vmcnt(0)
	buffer_wbinvl1_vol
	global_load_dwordx2 v[2:3], v26, s[50:51] offset:40
	global_load_dwordx2 v[22:23], v26, s[50:51]
	s_waitcnt vmcnt(1)
	v_and_b32_e32 v2, v2, v24
	v_and_b32_e32 v3, v3, v25
	v_mul_lo_u32 v3, v3, 24
	v_mul_hi_u32 v27, v2, 24
	v_mul_lo_u32 v2, v2, 24
	v_add_u32_e32 v3, v27, v3
	s_waitcnt vmcnt(0)
	v_add_co_u32_e32 v2, vcc, v22, v2
	v_addc_co_u32_e32 v3, vcc, v23, v3, vcc
	global_load_dwordx2 v[22:23], v[2:3], off glc
	s_waitcnt vmcnt(0)
	global_atomic_cmpswap_x2 v[2:3], v26, v[22:25], s[50:51] offset:24 glc
	s_waitcnt vmcnt(0)
	buffer_wbinvl1_vol
	v_cmp_ne_u64_e32 vcc, v[2:3], v[24:25]
	s_and_saveexec_b64 s[20:21], vcc
	s_cbranch_execz .LBB8_218
; %bb.215:                              ;   in Loop: Header=BB8_158 Depth=1
	s_mov_b64 s[22:23], 0
.LBB8_216:                              ;   Parent Loop BB8_158 Depth=1
                                        ; =>  This Inner Loop Header: Depth=2
	s_sleep 1
	global_load_dwordx2 v[22:23], v26, s[50:51] offset:40
	global_load_dwordx2 v[27:28], v26, s[50:51]
	v_mov_b32_e32 v25, v3
	v_mov_b32_e32 v24, v2
	s_waitcnt vmcnt(1)
	v_and_b32_e32 v2, v22, v24
	s_waitcnt vmcnt(0)
	v_mad_u64_u32 v[2:3], s[24:25], v2, 24, v[27:28]
	v_and_b32_e32 v22, v23, v25
	v_mad_u64_u32 v[22:23], s[24:25], v22, 24, v[3:4]
	v_mov_b32_e32 v3, v22
	global_load_dwordx2 v[22:23], v[2:3], off glc
	s_waitcnt vmcnt(0)
	global_atomic_cmpswap_x2 v[2:3], v26, v[22:25], s[50:51] offset:24 glc
	s_waitcnt vmcnt(0)
	buffer_wbinvl1_vol
	v_cmp_eq_u64_e32 vcc, v[2:3], v[24:25]
	s_or_b64 s[22:23], vcc, s[22:23]
	s_andn2_b64 exec, exec, s[22:23]
	s_cbranch_execnz .LBB8_216
; %bb.217:                              ;   in Loop: Header=BB8_158 Depth=1
	s_or_b64 exec, exec, s[22:23]
.LBB8_218:                              ;   in Loop: Header=BB8_158 Depth=1
	s_or_b64 exec, exec, s[20:21]
.LBB8_219:                              ;   in Loop: Header=BB8_158 Depth=1
	s_or_b64 exec, exec, s[18:19]
	global_load_dwordx2 v[27:28], v26, s[50:51] offset:40
	global_load_dwordx4 v[22:25], v26, s[50:51]
	v_readfirstlane_b32 s18, v2
	v_readfirstlane_b32 s19, v3
	s_mov_b64 s[20:21], exec
	s_waitcnt vmcnt(1)
	v_readfirstlane_b32 s22, v27
	v_readfirstlane_b32 s23, v28
	s_and_b64 s[22:23], s[18:19], s[22:23]
	s_mul_i32 s11, s23, 24
	s_mul_hi_u32 s24, s22, 24
	s_mul_i32 s25, s22, 24
	s_add_i32 s11, s24, s11
	v_mov_b32_e32 v2, s11
	s_waitcnt vmcnt(0)
	v_add_co_u32_e32 v27, vcc, s25, v22
	v_addc_co_u32_e32 v28, vcc, v23, v2, vcc
	s_and_saveexec_b64 s[24:25], s[6:7]
	s_cbranch_execz .LBB8_221
; %bb.220:                              ;   in Loop: Header=BB8_158 Depth=1
	v_mov_b32_e32 v2, s20
	v_mov_b32_e32 v3, s21
	global_store_dwordx4 v[27:28], v[2:5], off offset:8
.LBB8_221:                              ;   in Loop: Header=BB8_158 Depth=1
	s_or_b64 exec, exec, s[24:25]
	s_lshl_b64 s[20:21], s[22:23], 12
	v_mov_b32_e32 v2, s21
	v_add_co_u32_e32 v24, vcc, s20, v24
	v_addc_co_u32_e32 v29, vcc, v25, v2, vcc
	v_cmp_gt_u64_e64 vcc, s[14:15], 56
	v_or_b32_e32 v2, 2, v6
	s_lshl_b32 s11, s16, 2
	v_cndmask_b32_e32 v2, v2, v6, vcc
	s_add_i32 s11, s11, 28
	s_and_b32 s11, s11, 0x1e0
	v_and_b32_e32 v2, 0xffffff1f, v2
	v_or_b32_e32 v6, s11, v2
	v_readfirstlane_b32 s20, v24
	v_readfirstlane_b32 s21, v29
	s_nop 4
	global_store_dwordx4 v42, v[6:9], s[20:21]
	global_store_dwordx4 v42, v[10:13], s[20:21] offset:16
	global_store_dwordx4 v42, v[14:17], s[20:21] offset:32
	;; [unrolled: 1-line block ×3, first 2 shown]
	s_and_saveexec_b64 s[20:21], s[6:7]
	s_cbranch_execz .LBB8_229
; %bb.222:                              ;   in Loop: Header=BB8_158 Depth=1
	global_load_dwordx2 v[10:11], v26, s[50:51] offset:32 glc
	global_load_dwordx2 v[2:3], v26, s[50:51] offset:40
	v_mov_b32_e32 v8, s18
	v_mov_b32_e32 v9, s19
	s_waitcnt vmcnt(0)
	v_readfirstlane_b32 s22, v2
	v_readfirstlane_b32 s23, v3
	s_and_b64 s[22:23], s[22:23], s[18:19]
	s_mul_i32 s11, s23, 24
	s_mul_hi_u32 s23, s22, 24
	s_mul_i32 s22, s22, 24
	s_add_i32 s11, s23, s11
	v_mov_b32_e32 v3, s11
	v_add_co_u32_e32 v2, vcc, s22, v22
	v_addc_co_u32_e32 v3, vcc, v23, v3, vcc
	global_store_dwordx2 v[2:3], v[10:11], off
	s_waitcnt vmcnt(0)
	global_atomic_cmpswap_x2 v[8:9], v26, v[8:11], s[50:51] offset:32 glc
	s_waitcnt vmcnt(0)
	v_cmp_ne_u64_e32 vcc, v[8:9], v[10:11]
	s_and_saveexec_b64 s[22:23], vcc
	s_cbranch_execz .LBB8_225
; %bb.223:                              ;   in Loop: Header=BB8_158 Depth=1
	s_mov_b64 s[24:25], 0
.LBB8_224:                              ;   Parent Loop BB8_158 Depth=1
                                        ; =>  This Inner Loop Header: Depth=2
	s_sleep 1
	global_store_dwordx2 v[2:3], v[8:9], off
	v_mov_b32_e32 v6, s18
	v_mov_b32_e32 v7, s19
	s_waitcnt vmcnt(0)
	global_atomic_cmpswap_x2 v[6:7], v26, v[6:9], s[50:51] offset:32 glc
	s_waitcnt vmcnt(0)
	v_cmp_eq_u64_e32 vcc, v[6:7], v[8:9]
	v_mov_b32_e32 v9, v7
	s_or_b64 s[24:25], vcc, s[24:25]
	v_mov_b32_e32 v8, v6
	s_andn2_b64 exec, exec, s[24:25]
	s_cbranch_execnz .LBB8_224
.LBB8_225:                              ;   in Loop: Header=BB8_158 Depth=1
	s_or_b64 exec, exec, s[22:23]
	global_load_dwordx2 v[2:3], v26, s[50:51] offset:16
	s_mov_b64 s[24:25], exec
	v_mbcnt_lo_u32_b32 v6, s24, 0
	v_mbcnt_hi_u32_b32 v6, s25, v6
	v_cmp_eq_u32_e32 vcc, 0, v6
	s_and_saveexec_b64 s[22:23], vcc
	s_cbranch_execz .LBB8_227
; %bb.226:                              ;   in Loop: Header=BB8_158 Depth=1
	s_bcnt1_i32_b64 s11, s[24:25]
	v_mov_b32_e32 v25, s11
	s_waitcnt vmcnt(0)
	global_atomic_add_x2 v[2:3], v[25:26], off offset:8
.LBB8_227:                              ;   in Loop: Header=BB8_158 Depth=1
	s_or_b64 exec, exec, s[22:23]
	s_waitcnt vmcnt(0)
	global_load_dwordx2 v[6:7], v[2:3], off offset:16
	s_waitcnt vmcnt(0)
	v_cmp_eq_u64_e32 vcc, 0, v[6:7]
	s_cbranch_vccnz .LBB8_229
; %bb.228:                              ;   in Loop: Header=BB8_158 Depth=1
	global_load_dword v25, v[2:3], off offset:24
	s_waitcnt vmcnt(0)
	v_and_b32_e32 v2, 0xffffff, v25
	v_readfirstlane_b32 m0, v2
	global_store_dwordx2 v[6:7], v[25:26], off
	s_sendmsg sendmsg(MSG_INTERRUPT)
.LBB8_229:                              ;   in Loop: Header=BB8_158 Depth=1
	s_or_b64 exec, exec, s[20:21]
	v_add_co_u32_e32 v2, vcc, v24, v42
	v_addc_co_u32_e32 v3, vcc, 0, v29, vcc
	s_branch .LBB8_233
.LBB8_230:                              ;   in Loop: Header=BB8_233 Depth=2
	s_or_b64 exec, exec, s[20:21]
	v_readfirstlane_b32 s11, v6
	s_cmp_eq_u32 s11, 0
	s_cbranch_scc1 .LBB8_232
; %bb.231:                              ;   in Loop: Header=BB8_233 Depth=2
	s_sleep 1
	s_cbranch_execnz .LBB8_233
	s_branch .LBB8_235
.LBB8_232:                              ;   in Loop: Header=BB8_158 Depth=1
	s_branch .LBB8_235
.LBB8_233:                              ;   Parent Loop BB8_158 Depth=1
                                        ; =>  This Inner Loop Header: Depth=2
	v_mov_b32_e32 v6, 1
	s_and_saveexec_b64 s[20:21], s[6:7]
	s_cbranch_execz .LBB8_230
; %bb.234:                              ;   in Loop: Header=BB8_233 Depth=2
	global_load_dword v6, v[27:28], off offset:20 glc
	s_waitcnt vmcnt(0)
	buffer_wbinvl1_vol
	v_and_b32_e32 v6, 1, v6
	s_branch .LBB8_230
.LBB8_235:                              ;   in Loop: Header=BB8_158 Depth=1
	global_load_dwordx4 v[6:9], v[2:3], off
	s_and_saveexec_b64 s[20:21], s[6:7]
	s_cbranch_execz .LBB8_157
; %bb.236:                              ;   in Loop: Header=BB8_158 Depth=1
	global_load_dwordx2 v[2:3], v26, s[50:51] offset:40
	global_load_dwordx2 v[12:13], v26, s[50:51] offset:24 glc
	global_load_dwordx2 v[14:15], v26, s[50:51]
	s_waitcnt vmcnt(3)
	v_mov_b32_e32 v9, s19
	s_waitcnt vmcnt(2)
	v_add_co_u32_e32 v10, vcc, 1, v2
	v_addc_co_u32_e32 v11, vcc, 0, v3, vcc
	v_add_co_u32_e32 v8, vcc, s18, v10
	v_addc_co_u32_e32 v9, vcc, v11, v9, vcc
	v_cmp_eq_u64_e32 vcc, 0, v[8:9]
	v_cndmask_b32_e32 v9, v9, v11, vcc
	v_cndmask_b32_e32 v8, v8, v10, vcc
	v_and_b32_e32 v3, v9, v3
	v_and_b32_e32 v2, v8, v2
	v_mul_lo_u32 v3, v3, 24
	v_mul_hi_u32 v11, v2, 24
	v_mul_lo_u32 v2, v2, 24
	s_waitcnt vmcnt(1)
	v_mov_b32_e32 v10, v12
	v_add_u32_e32 v3, v11, v3
	s_waitcnt vmcnt(0)
	v_add_co_u32_e32 v2, vcc, v14, v2
	v_addc_co_u32_e32 v3, vcc, v15, v3, vcc
	global_store_dwordx2 v[2:3], v[12:13], off
	v_mov_b32_e32 v11, v13
	s_waitcnt vmcnt(0)
	global_atomic_cmpswap_x2 v[10:11], v26, v[8:11], s[50:51] offset:24 glc
	s_waitcnt vmcnt(0)
	v_cmp_ne_u64_e32 vcc, v[10:11], v[12:13]
	s_and_b64 exec, exec, vcc
	s_cbranch_execz .LBB8_157
; %bb.237:                              ;   in Loop: Header=BB8_158 Depth=1
	s_mov_b64 s[6:7], 0
.LBB8_238:                              ;   Parent Loop BB8_158 Depth=1
                                        ; =>  This Inner Loop Header: Depth=2
	s_sleep 1
	global_store_dwordx2 v[2:3], v[10:11], off
	s_waitcnt vmcnt(0)
	global_atomic_cmpswap_x2 v[12:13], v26, v[8:11], s[50:51] offset:24 glc
	s_waitcnt vmcnt(0)
	v_cmp_eq_u64_e32 vcc, v[12:13], v[10:11]
	v_mov_b32_e32 v10, v12
	s_or_b64 s[6:7], vcc, s[6:7]
	v_mov_b32_e32 v11, v13
	s_andn2_b64 exec, exec, s[6:7]
	s_cbranch_execnz .LBB8_238
	s_branch .LBB8_157
.LBB8_239:
	s_mov_b64 s[6:7], 0
	s_branch .LBB8_241
.LBB8_240:
	s_mov_b64 s[6:7], -1
.LBB8_241:
	s_and_b64 vcc, exec, s[6:7]
	s_cbranch_vccz .LBB8_268
; %bb.242:
	v_readfirstlane_b32 s6, v43
	s_waitcnt vmcnt(0)
	v_mov_b32_e32 v8, 0
	v_mov_b32_e32 v9, 0
	v_cmp_eq_u32_e64 s[6:7], s6, v43
	s_and_saveexec_b64 s[12:13], s[6:7]
	s_cbranch_execz .LBB8_248
; %bb.243:
	v_mov_b32_e32 v2, 0
	global_load_dwordx2 v[5:6], v2, s[50:51] offset:24 glc
	s_waitcnt vmcnt(0)
	buffer_wbinvl1_vol
	global_load_dwordx2 v[3:4], v2, s[50:51] offset:40
	global_load_dwordx2 v[7:8], v2, s[50:51]
	s_waitcnt vmcnt(1)
	v_and_b32_e32 v3, v3, v5
	v_and_b32_e32 v4, v4, v6
	v_mul_lo_u32 v4, v4, 24
	v_mul_hi_u32 v9, v3, 24
	v_mul_lo_u32 v3, v3, 24
	v_add_u32_e32 v4, v9, v4
	s_waitcnt vmcnt(0)
	v_add_co_u32_e32 v3, vcc, v7, v3
	v_addc_co_u32_e32 v4, vcc, v8, v4, vcc
	global_load_dwordx2 v[3:4], v[3:4], off glc
	s_waitcnt vmcnt(0)
	global_atomic_cmpswap_x2 v[8:9], v2, v[3:6], s[50:51] offset:24 glc
	s_waitcnt vmcnt(0)
	buffer_wbinvl1_vol
	v_cmp_ne_u64_e32 vcc, v[8:9], v[5:6]
	s_and_saveexec_b64 s[14:15], vcc
	s_cbranch_execz .LBB8_247
; %bb.244:
	s_mov_b64 s[16:17], 0
.LBB8_245:                              ; =>This Inner Loop Header: Depth=1
	s_sleep 1
	global_load_dwordx2 v[3:4], v2, s[50:51] offset:40
	global_load_dwordx2 v[10:11], v2, s[50:51]
	v_mov_b32_e32 v5, v8
	v_mov_b32_e32 v6, v9
	s_waitcnt vmcnt(1)
	v_and_b32_e32 v3, v3, v5
	s_waitcnt vmcnt(0)
	v_mad_u64_u32 v[7:8], s[18:19], v3, 24, v[10:11]
	v_and_b32_e32 v4, v4, v6
	v_mov_b32_e32 v3, v8
	v_mad_u64_u32 v[3:4], s[18:19], v4, 24, v[3:4]
	v_mov_b32_e32 v8, v3
	global_load_dwordx2 v[3:4], v[7:8], off glc
	s_waitcnt vmcnt(0)
	global_atomic_cmpswap_x2 v[8:9], v2, v[3:6], s[50:51] offset:24 glc
	s_waitcnt vmcnt(0)
	buffer_wbinvl1_vol
	v_cmp_eq_u64_e32 vcc, v[8:9], v[5:6]
	s_or_b64 s[16:17], vcc, s[16:17]
	s_andn2_b64 exec, exec, s[16:17]
	s_cbranch_execnz .LBB8_245
; %bb.246:
	s_or_b64 exec, exec, s[16:17]
.LBB8_247:
	s_or_b64 exec, exec, s[14:15]
.LBB8_248:
	s_or_b64 exec, exec, s[12:13]
	v_mov_b32_e32 v2, 0
	global_load_dwordx2 v[10:11], v2, s[50:51] offset:40
	global_load_dwordx4 v[4:7], v2, s[50:51]
	v_readfirstlane_b32 s12, v8
	v_readfirstlane_b32 s13, v9
	s_mov_b64 s[14:15], exec
	s_waitcnt vmcnt(1)
	v_readfirstlane_b32 s16, v10
	v_readfirstlane_b32 s17, v11
	s_and_b64 s[16:17], s[12:13], s[16:17]
	s_mul_i32 s11, s17, 24
	s_mul_hi_u32 s18, s16, 24
	s_mul_i32 s19, s16, 24
	s_add_i32 s11, s18, s11
	v_mov_b32_e32 v3, s11
	s_waitcnt vmcnt(0)
	v_add_co_u32_e32 v8, vcc, s19, v4
	v_addc_co_u32_e32 v9, vcc, v5, v3, vcc
	s_and_saveexec_b64 s[18:19], s[6:7]
	s_cbranch_execz .LBB8_250
; %bb.249:
	v_mov_b32_e32 v10, s14
	v_mov_b32_e32 v11, s15
	;; [unrolled: 1-line block ×4, first 2 shown]
	global_store_dwordx4 v[8:9], v[10:13], off offset:8
.LBB8_250:
	s_or_b64 exec, exec, s[18:19]
	s_lshl_b64 s[14:15], s[16:17], 12
	v_mov_b32_e32 v3, s15
	v_add_co_u32_e32 v6, vcc, s14, v6
	v_addc_co_u32_e32 v7, vcc, v7, v3, vcc
	s_movk_i32 s11, 0xff1d
	v_and_or_b32 v0, v0, s11, 34
	s_mov_b32 s16, 0
	v_mov_b32_e32 v3, v2
	v_readfirstlane_b32 s14, v6
	v_readfirstlane_b32 s15, v7
	s_mov_b32 s17, s16
	s_mov_b32 s18, s16
	;; [unrolled: 1-line block ×3, first 2 shown]
	s_nop 1
	global_store_dwordx4 v42, v[0:3], s[14:15]
	s_nop 0
	v_mov_b32_e32 v0, s16
	v_mov_b32_e32 v1, s17
	;; [unrolled: 1-line block ×4, first 2 shown]
	global_store_dwordx4 v42, v[0:3], s[14:15] offset:16
	global_store_dwordx4 v42, v[0:3], s[14:15] offset:32
	;; [unrolled: 1-line block ×3, first 2 shown]
	s_and_saveexec_b64 s[14:15], s[6:7]
	s_cbranch_execz .LBB8_258
; %bb.251:
	v_mov_b32_e32 v6, 0
	global_load_dwordx2 v[12:13], v6, s[50:51] offset:32 glc
	global_load_dwordx2 v[0:1], v6, s[50:51] offset:40
	v_mov_b32_e32 v10, s12
	v_mov_b32_e32 v11, s13
	s_waitcnt vmcnt(0)
	v_readfirstlane_b32 s16, v0
	v_readfirstlane_b32 s17, v1
	s_and_b64 s[16:17], s[16:17], s[12:13]
	s_mul_i32 s11, s17, 24
	s_mul_hi_u32 s17, s16, 24
	s_mul_i32 s16, s16, 24
	s_add_i32 s11, s17, s11
	v_mov_b32_e32 v0, s11
	v_add_co_u32_e32 v4, vcc, s16, v4
	v_addc_co_u32_e32 v5, vcc, v5, v0, vcc
	global_store_dwordx2 v[4:5], v[12:13], off
	s_waitcnt vmcnt(0)
	global_atomic_cmpswap_x2 v[2:3], v6, v[10:13], s[50:51] offset:32 glc
	s_waitcnt vmcnt(0)
	v_cmp_ne_u64_e32 vcc, v[2:3], v[12:13]
	s_and_saveexec_b64 s[16:17], vcc
	s_cbranch_execz .LBB8_254
; %bb.252:
	s_mov_b64 s[18:19], 0
.LBB8_253:                              ; =>This Inner Loop Header: Depth=1
	s_sleep 1
	global_store_dwordx2 v[4:5], v[2:3], off
	v_mov_b32_e32 v0, s12
	v_mov_b32_e32 v1, s13
	s_waitcnt vmcnt(0)
	global_atomic_cmpswap_x2 v[0:1], v6, v[0:3], s[50:51] offset:32 glc
	s_waitcnt vmcnt(0)
	v_cmp_eq_u64_e32 vcc, v[0:1], v[2:3]
	v_mov_b32_e32 v3, v1
	s_or_b64 s[18:19], vcc, s[18:19]
	v_mov_b32_e32 v2, v0
	s_andn2_b64 exec, exec, s[18:19]
	s_cbranch_execnz .LBB8_253
.LBB8_254:
	s_or_b64 exec, exec, s[16:17]
	v_mov_b32_e32 v3, 0
	global_load_dwordx2 v[0:1], v3, s[50:51] offset:16
	s_mov_b64 s[16:17], exec
	v_mbcnt_lo_u32_b32 v2, s16, 0
	v_mbcnt_hi_u32_b32 v2, s17, v2
	v_cmp_eq_u32_e32 vcc, 0, v2
	s_and_saveexec_b64 s[18:19], vcc
	s_cbranch_execz .LBB8_256
; %bb.255:
	s_bcnt1_i32_b64 s11, s[16:17]
	v_mov_b32_e32 v2, s11
	s_waitcnt vmcnt(0)
	global_atomic_add_x2 v[0:1], v[2:3], off offset:8
.LBB8_256:
	s_or_b64 exec, exec, s[18:19]
	s_waitcnt vmcnt(0)
	global_load_dwordx2 v[2:3], v[0:1], off offset:16
	s_waitcnt vmcnt(0)
	v_cmp_eq_u64_e32 vcc, 0, v[2:3]
	s_cbranch_vccnz .LBB8_258
; %bb.257:
	global_load_dword v0, v[0:1], off offset:24
	v_mov_b32_e32 v1, 0
	s_waitcnt vmcnt(0)
	global_store_dwordx2 v[2:3], v[0:1], off
	v_and_b32_e32 v0, 0xffffff, v0
	v_readfirstlane_b32 m0, v0
	s_sendmsg sendmsg(MSG_INTERRUPT)
.LBB8_258:
	s_or_b64 exec, exec, s[14:15]
	s_branch .LBB8_262
.LBB8_259:                              ;   in Loop: Header=BB8_262 Depth=1
	s_or_b64 exec, exec, s[14:15]
	v_readfirstlane_b32 s11, v0
	s_cmp_eq_u32 s11, 0
	s_cbranch_scc1 .LBB8_261
; %bb.260:                              ;   in Loop: Header=BB8_262 Depth=1
	s_sleep 1
	s_cbranch_execnz .LBB8_262
	s_branch .LBB8_264
.LBB8_261:
	s_branch .LBB8_264
.LBB8_262:                              ; =>This Inner Loop Header: Depth=1
	v_mov_b32_e32 v0, 1
	s_and_saveexec_b64 s[14:15], s[6:7]
	s_cbranch_execz .LBB8_259
; %bb.263:                              ;   in Loop: Header=BB8_262 Depth=1
	global_load_dword v0, v[8:9], off offset:20 glc
	s_waitcnt vmcnt(0)
	buffer_wbinvl1_vol
	v_and_b32_e32 v0, 1, v0
	s_branch .LBB8_259
.LBB8_264:
	s_and_saveexec_b64 s[14:15], s[6:7]
	s_cbranch_execz .LBB8_267
; %bb.265:
	v_mov_b32_e32 v6, 0
	global_load_dwordx2 v[2:3], v6, s[50:51] offset:40
	global_load_dwordx2 v[7:8], v6, s[50:51] offset:24 glc
	global_load_dwordx2 v[4:5], v6, s[50:51]
	v_mov_b32_e32 v1, s13
	s_mov_b64 s[6:7], 0
	s_waitcnt vmcnt(2)
	v_add_co_u32_e32 v9, vcc, 1, v2
	v_addc_co_u32_e32 v10, vcc, 0, v3, vcc
	v_add_co_u32_e32 v0, vcc, s12, v9
	v_addc_co_u32_e32 v1, vcc, v10, v1, vcc
	v_cmp_eq_u64_e32 vcc, 0, v[0:1]
	v_cndmask_b32_e32 v1, v1, v10, vcc
	v_cndmask_b32_e32 v0, v0, v9, vcc
	v_and_b32_e32 v3, v1, v3
	v_and_b32_e32 v2, v0, v2
	v_mul_lo_u32 v3, v3, 24
	v_mul_hi_u32 v9, v2, 24
	v_mul_lo_u32 v10, v2, 24
	s_waitcnt vmcnt(1)
	v_mov_b32_e32 v2, v7
	v_add_u32_e32 v3, v9, v3
	s_waitcnt vmcnt(0)
	v_add_co_u32_e32 v4, vcc, v4, v10
	v_addc_co_u32_e32 v5, vcc, v5, v3, vcc
	global_store_dwordx2 v[4:5], v[7:8], off
	v_mov_b32_e32 v3, v8
	s_waitcnt vmcnt(0)
	global_atomic_cmpswap_x2 v[2:3], v6, v[0:3], s[50:51] offset:24 glc
	s_waitcnt vmcnt(0)
	v_cmp_ne_u64_e32 vcc, v[2:3], v[7:8]
	s_and_b64 exec, exec, vcc
	s_cbranch_execz .LBB8_267
.LBB8_266:                              ; =>This Inner Loop Header: Depth=1
	s_sleep 1
	global_store_dwordx2 v[4:5], v[2:3], off
	s_waitcnt vmcnt(0)
	global_atomic_cmpswap_x2 v[7:8], v6, v[0:3], s[50:51] offset:24 glc
	s_waitcnt vmcnt(0)
	v_cmp_eq_u64_e32 vcc, v[7:8], v[2:3]
	v_mov_b32_e32 v2, v7
	s_or_b64 s[6:7], vcc, s[6:7]
	v_mov_b32_e32 v3, v8
	s_andn2_b64 exec, exec, s[6:7]
	s_cbranch_execnz .LBB8_266
.LBB8_267:
	s_or_b64 exec, exec, s[14:15]
.LBB8_268:
	v_readfirstlane_b32 s6, v43
	s_waitcnt vmcnt(0)
	v_mov_b32_e32 v5, 0
	v_mov_b32_e32 v6, 0
	v_cmp_eq_u32_e64 s[6:7], s6, v43
	s_and_saveexec_b64 s[12:13], s[6:7]
	s_cbranch_execz .LBB8_274
; %bb.269:
	v_mov_b32_e32 v0, 0
	global_load_dwordx2 v[3:4], v0, s[50:51] offset:24 glc
	s_waitcnt vmcnt(0)
	buffer_wbinvl1_vol
	global_load_dwordx2 v[1:2], v0, s[50:51] offset:40
	global_load_dwordx2 v[5:6], v0, s[50:51]
	s_waitcnt vmcnt(1)
	v_and_b32_e32 v1, v1, v3
	v_and_b32_e32 v2, v2, v4
	v_mul_lo_u32 v2, v2, 24
	v_mul_hi_u32 v7, v1, 24
	v_mul_lo_u32 v1, v1, 24
	v_add_u32_e32 v2, v7, v2
	s_waitcnt vmcnt(0)
	v_add_co_u32_e32 v1, vcc, v5, v1
	v_addc_co_u32_e32 v2, vcc, v6, v2, vcc
	global_load_dwordx2 v[1:2], v[1:2], off glc
	s_waitcnt vmcnt(0)
	global_atomic_cmpswap_x2 v[5:6], v0, v[1:4], s[50:51] offset:24 glc
	s_waitcnt vmcnt(0)
	buffer_wbinvl1_vol
	v_cmp_ne_u64_e32 vcc, v[5:6], v[3:4]
	s_and_saveexec_b64 s[14:15], vcc
	s_cbranch_execz .LBB8_273
; %bb.270:
	s_mov_b64 s[16:17], 0
.LBB8_271:                              ; =>This Inner Loop Header: Depth=1
	s_sleep 1
	global_load_dwordx2 v[1:2], v0, s[50:51] offset:40
	global_load_dwordx2 v[7:8], v0, s[50:51]
	v_mov_b32_e32 v3, v5
	v_mov_b32_e32 v4, v6
	s_waitcnt vmcnt(1)
	v_and_b32_e32 v1, v1, v3
	s_waitcnt vmcnt(0)
	v_mad_u64_u32 v[5:6], s[18:19], v1, 24, v[7:8]
	v_and_b32_e32 v2, v2, v4
	v_mov_b32_e32 v1, v6
	v_mad_u64_u32 v[1:2], s[18:19], v2, 24, v[1:2]
	v_mov_b32_e32 v6, v1
	global_load_dwordx2 v[1:2], v[5:6], off glc
	s_waitcnt vmcnt(0)
	global_atomic_cmpswap_x2 v[5:6], v0, v[1:4], s[50:51] offset:24 glc
	s_waitcnt vmcnt(0)
	buffer_wbinvl1_vol
	v_cmp_eq_u64_e32 vcc, v[5:6], v[3:4]
	s_or_b64 s[16:17], vcc, s[16:17]
	s_andn2_b64 exec, exec, s[16:17]
	s_cbranch_execnz .LBB8_271
; %bb.272:
	s_or_b64 exec, exec, s[16:17]
.LBB8_273:
	s_or_b64 exec, exec, s[14:15]
.LBB8_274:
	s_or_b64 exec, exec, s[12:13]
	v_mov_b32_e32 v4, 0
	global_load_dwordx2 v[7:8], v4, s[50:51] offset:40
	global_load_dwordx4 v[0:3], v4, s[50:51]
	v_readfirstlane_b32 s12, v5
	v_readfirstlane_b32 s13, v6
	s_mov_b64 s[14:15], exec
	s_waitcnt vmcnt(1)
	v_readfirstlane_b32 s16, v7
	v_readfirstlane_b32 s17, v8
	s_and_b64 s[16:17], s[12:13], s[16:17]
	s_mul_i32 s11, s17, 24
	s_mul_hi_u32 s18, s16, 24
	s_mul_i32 s19, s16, 24
	s_add_i32 s11, s18, s11
	v_mov_b32_e32 v5, s11
	s_waitcnt vmcnt(0)
	v_add_co_u32_e32 v7, vcc, s19, v0
	v_addc_co_u32_e32 v8, vcc, v1, v5, vcc
	s_and_saveexec_b64 s[18:19], s[6:7]
	s_cbranch_execz .LBB8_276
; %bb.275:
	v_mov_b32_e32 v9, s14
	v_mov_b32_e32 v10, s15
	;; [unrolled: 1-line block ×4, first 2 shown]
	global_store_dwordx4 v[7:8], v[9:12], off offset:8
.LBB8_276:
	s_or_b64 exec, exec, s[18:19]
	s_lshl_b64 s[14:15], s[16:17], 12
	v_mov_b32_e32 v5, s15
	v_add_co_u32_e32 v2, vcc, s14, v2
	v_addc_co_u32_e32 v11, vcc, v3, v5, vcc
	s_mov_b32 s16, 0
	v_mov_b32_e32 v3, 33
	v_mov_b32_e32 v5, v4
	;; [unrolled: 1-line block ×3, first 2 shown]
	v_readfirstlane_b32 s14, v2
	v_readfirstlane_b32 s15, v11
	v_add_co_u32_e32 v9, vcc, v2, v42
	s_mov_b32 s17, s16
	s_mov_b32 s18, s16
	;; [unrolled: 1-line block ×3, first 2 shown]
	s_nop 0
	global_store_dwordx4 v42, v[3:6], s[14:15]
	v_mov_b32_e32 v2, s16
	v_addc_co_u32_e32 v10, vcc, 0, v11, vcc
	v_mov_b32_e32 v3, s17
	v_mov_b32_e32 v4, s18
	;; [unrolled: 1-line block ×3, first 2 shown]
	global_store_dwordx4 v42, v[2:5], s[14:15] offset:16
	global_store_dwordx4 v42, v[2:5], s[14:15] offset:32
	;; [unrolled: 1-line block ×3, first 2 shown]
	s_and_saveexec_b64 s[14:15], s[6:7]
	s_cbranch_execz .LBB8_284
; %bb.277:
	v_mov_b32_e32 v6, 0
	global_load_dwordx2 v[13:14], v6, s[50:51] offset:32 glc
	global_load_dwordx2 v[2:3], v6, s[50:51] offset:40
	v_mov_b32_e32 v11, s12
	v_mov_b32_e32 v12, s13
	s_waitcnt vmcnt(0)
	v_readfirstlane_b32 s16, v2
	v_readfirstlane_b32 s17, v3
	s_and_b64 s[16:17], s[16:17], s[12:13]
	s_mul_i32 s11, s17, 24
	s_mul_hi_u32 s17, s16, 24
	s_mul_i32 s16, s16, 24
	s_add_i32 s11, s17, s11
	v_mov_b32_e32 v2, s11
	v_add_co_u32_e32 v4, vcc, s16, v0
	v_addc_co_u32_e32 v5, vcc, v1, v2, vcc
	global_store_dwordx2 v[4:5], v[13:14], off
	s_waitcnt vmcnt(0)
	global_atomic_cmpswap_x2 v[2:3], v6, v[11:14], s[50:51] offset:32 glc
	s_waitcnt vmcnt(0)
	v_cmp_ne_u64_e32 vcc, v[2:3], v[13:14]
	s_and_saveexec_b64 s[16:17], vcc
	s_cbranch_execz .LBB8_280
; %bb.278:
	s_mov_b64 s[18:19], 0
.LBB8_279:                              ; =>This Inner Loop Header: Depth=1
	s_sleep 1
	global_store_dwordx2 v[4:5], v[2:3], off
	v_mov_b32_e32 v0, s12
	v_mov_b32_e32 v1, s13
	s_waitcnt vmcnt(0)
	global_atomic_cmpswap_x2 v[0:1], v6, v[0:3], s[50:51] offset:32 glc
	s_waitcnt vmcnt(0)
	v_cmp_eq_u64_e32 vcc, v[0:1], v[2:3]
	v_mov_b32_e32 v3, v1
	s_or_b64 s[18:19], vcc, s[18:19]
	v_mov_b32_e32 v2, v0
	s_andn2_b64 exec, exec, s[18:19]
	s_cbranch_execnz .LBB8_279
.LBB8_280:
	s_or_b64 exec, exec, s[16:17]
	v_mov_b32_e32 v3, 0
	global_load_dwordx2 v[0:1], v3, s[50:51] offset:16
	s_mov_b64 s[16:17], exec
	v_mbcnt_lo_u32_b32 v2, s16, 0
	v_mbcnt_hi_u32_b32 v2, s17, v2
	v_cmp_eq_u32_e32 vcc, 0, v2
	s_and_saveexec_b64 s[18:19], vcc
	s_cbranch_execz .LBB8_282
; %bb.281:
	s_bcnt1_i32_b64 s11, s[16:17]
	v_mov_b32_e32 v2, s11
	s_waitcnt vmcnt(0)
	global_atomic_add_x2 v[0:1], v[2:3], off offset:8
.LBB8_282:
	s_or_b64 exec, exec, s[18:19]
	s_waitcnt vmcnt(0)
	global_load_dwordx2 v[2:3], v[0:1], off offset:16
	s_waitcnt vmcnt(0)
	v_cmp_eq_u64_e32 vcc, 0, v[2:3]
	s_cbranch_vccnz .LBB8_284
; %bb.283:
	global_load_dword v0, v[0:1], off offset:24
	v_mov_b32_e32 v1, 0
	s_waitcnt vmcnt(0)
	global_store_dwordx2 v[2:3], v[0:1], off
	v_and_b32_e32 v0, 0xffffff, v0
	v_readfirstlane_b32 m0, v0
	s_sendmsg sendmsg(MSG_INTERRUPT)
.LBB8_284:
	s_or_b64 exec, exec, s[14:15]
	s_branch .LBB8_288
.LBB8_285:                              ;   in Loop: Header=BB8_288 Depth=1
	s_or_b64 exec, exec, s[14:15]
	v_readfirstlane_b32 s11, v0
	s_cmp_eq_u32 s11, 0
	s_cbranch_scc1 .LBB8_287
; %bb.286:                              ;   in Loop: Header=BB8_288 Depth=1
	s_sleep 1
	s_cbranch_execnz .LBB8_288
	s_branch .LBB8_290
.LBB8_287:
	s_branch .LBB8_290
.LBB8_288:                              ; =>This Inner Loop Header: Depth=1
	v_mov_b32_e32 v0, 1
	s_and_saveexec_b64 s[14:15], s[6:7]
	s_cbranch_execz .LBB8_285
; %bb.289:                              ;   in Loop: Header=BB8_288 Depth=1
	global_load_dword v0, v[7:8], off offset:20 glc
	s_waitcnt vmcnt(0)
	buffer_wbinvl1_vol
	v_and_b32_e32 v0, 1, v0
	s_branch .LBB8_285
.LBB8_290:
	global_load_dwordx2 v[0:1], v[9:10], off
	s_and_saveexec_b64 s[14:15], s[6:7]
	s_cbranch_execz .LBB8_293
; %bb.291:
	v_mov_b32_e32 v8, 0
	global_load_dwordx2 v[4:5], v8, s[50:51] offset:40
	global_load_dwordx2 v[9:10], v8, s[50:51] offset:24 glc
	global_load_dwordx2 v[6:7], v8, s[50:51]
	v_mov_b32_e32 v3, s13
	s_mov_b64 s[6:7], 0
	s_waitcnt vmcnt(2)
	v_add_co_u32_e32 v11, vcc, 1, v4
	v_addc_co_u32_e32 v12, vcc, 0, v5, vcc
	v_add_co_u32_e32 v2, vcc, s12, v11
	v_addc_co_u32_e32 v3, vcc, v12, v3, vcc
	v_cmp_eq_u64_e32 vcc, 0, v[2:3]
	v_cndmask_b32_e32 v3, v3, v12, vcc
	v_cndmask_b32_e32 v2, v2, v11, vcc
	v_and_b32_e32 v5, v3, v5
	v_and_b32_e32 v4, v2, v4
	v_mul_lo_u32 v5, v5, 24
	v_mul_hi_u32 v11, v4, 24
	v_mul_lo_u32 v12, v4, 24
	s_waitcnt vmcnt(1)
	v_mov_b32_e32 v4, v9
	v_add_u32_e32 v5, v11, v5
	s_waitcnt vmcnt(0)
	v_add_co_u32_e32 v6, vcc, v6, v12
	v_addc_co_u32_e32 v7, vcc, v7, v5, vcc
	global_store_dwordx2 v[6:7], v[9:10], off
	v_mov_b32_e32 v5, v10
	s_waitcnt vmcnt(0)
	global_atomic_cmpswap_x2 v[4:5], v8, v[2:5], s[50:51] offset:24 glc
	s_waitcnt vmcnt(0)
	v_cmp_ne_u64_e32 vcc, v[4:5], v[9:10]
	s_and_b64 exec, exec, vcc
	s_cbranch_execz .LBB8_293
.LBB8_292:                              ; =>This Inner Loop Header: Depth=1
	s_sleep 1
	global_store_dwordx2 v[6:7], v[4:5], off
	s_waitcnt vmcnt(0)
	global_atomic_cmpswap_x2 v[9:10], v8, v[2:5], s[50:51] offset:24 glc
	s_waitcnt vmcnt(0)
	v_cmp_eq_u64_e32 vcc, v[9:10], v[4:5]
	v_mov_b32_e32 v4, v9
	s_or_b64 s[6:7], vcc, s[6:7]
	v_mov_b32_e32 v5, v10
	s_andn2_b64 exec, exec, s[6:7]
	s_cbranch_execnz .LBB8_292
.LBB8_293:
	s_or_b64 exec, exec, s[14:15]
	s_getpc_b64 s[12:13]
	s_add_u32 s12, s12, .str.6@rel32@lo+4
	s_addc_u32 s13, s13, .str.6@rel32@hi+12
	s_cmp_lg_u64 s[12:13], 0
	s_cselect_b64 s[54:55], -1, 0
	s_and_b64 vcc, exec, s[54:55]
	s_cbranch_vccz .LBB8_378
; %bb.294:
	s_waitcnt vmcnt(0)
	v_and_b32_e32 v31, 2, v0
	v_mov_b32_e32 v28, 0
	v_and_b32_e32 v2, -3, v0
	v_mov_b32_e32 v3, v1
	s_mov_b64 s[14:15], 3
	v_mov_b32_e32 v6, 2
	v_mov_b32_e32 v7, 1
	s_branch .LBB8_296
.LBB8_295:                              ;   in Loop: Header=BB8_296 Depth=1
	s_or_b64 exec, exec, s[20:21]
	s_sub_u32 s14, s14, s16
	s_subb_u32 s15, s15, s17
	s_add_u32 s12, s12, s16
	s_addc_u32 s13, s13, s17
	s_cmp_lg_u64 s[14:15], 0
	s_cbranch_scc0 .LBB8_377
.LBB8_296:                              ; =>This Loop Header: Depth=1
                                        ;     Child Loop BB8_299 Depth 2
                                        ;     Child Loop BB8_306 Depth 2
	;; [unrolled: 1-line block ×11, first 2 shown]
	v_cmp_lt_u64_e64 s[6:7], s[14:15], 56
	v_cmp_gt_u64_e64 s[18:19], s[14:15], 7
	s_and_b64 s[6:7], s[6:7], exec
	s_cselect_b32 s17, s15, 0
	s_cselect_b32 s16, s14, 56
	s_and_b64 vcc, exec, s[18:19]
	s_cbranch_vccnz .LBB8_301
; %bb.297:                              ;   in Loop: Header=BB8_296 Depth=1
	v_mov_b32_e32 v10, 0
	s_cmp_eq_u64 s[14:15], 0
	v_mov_b32_e32 v11, 0
	s_mov_b64 s[6:7], 0
	s_cbranch_scc1 .LBB8_300
; %bb.298:                              ;   in Loop: Header=BB8_296 Depth=1
	v_mov_b32_e32 v10, 0
	s_lshl_b64 s[18:19], s[16:17], 3
	s_mov_b64 s[20:21], 0
	v_mov_b32_e32 v11, 0
	s_mov_b64 s[22:23], s[12:13]
.LBB8_299:                              ;   Parent Loop BB8_296 Depth=1
                                        ; =>  This Inner Loop Header: Depth=2
	global_load_ubyte v4, v28, s[22:23]
	s_waitcnt vmcnt(0)
	v_and_b32_e32 v27, 0xffff, v4
	v_lshlrev_b64 v[4:5], s20, v[27:28]
	s_add_u32 s20, s20, 8
	s_addc_u32 s21, s21, 0
	s_add_u32 s22, s22, 1
	s_addc_u32 s23, s23, 0
	v_or_b32_e32 v10, v4, v10
	s_cmp_lg_u32 s18, s20
	v_or_b32_e32 v11, v5, v11
	s_cbranch_scc1 .LBB8_299
.LBB8_300:                              ;   in Loop: Header=BB8_296 Depth=1
	s_mov_b32 s11, 0
	s_andn2_b64 vcc, exec, s[6:7]
	s_mov_b64 s[6:7], s[12:13]
	s_cbranch_vccz .LBB8_302
	s_branch .LBB8_303
.LBB8_301:                              ;   in Loop: Header=BB8_296 Depth=1
                                        ; implicit-def: $vgpr10_vgpr11
                                        ; implicit-def: $sgpr11
	s_mov_b64 s[6:7], s[12:13]
.LBB8_302:                              ;   in Loop: Header=BB8_296 Depth=1
	global_load_dwordx2 v[10:11], v28, s[12:13]
	s_add_i32 s11, s16, -8
	s_add_u32 s6, s12, 8
	s_addc_u32 s7, s13, 0
.LBB8_303:                              ;   in Loop: Header=BB8_296 Depth=1
	s_cmp_gt_u32 s11, 7
	s_cbranch_scc1 .LBB8_307
; %bb.304:                              ;   in Loop: Header=BB8_296 Depth=1
	s_cmp_eq_u32 s11, 0
	s_cbranch_scc1 .LBB8_308
; %bb.305:                              ;   in Loop: Header=BB8_296 Depth=1
	v_mov_b32_e32 v12, 0
	s_mov_b64 s[18:19], 0
	v_mov_b32_e32 v13, 0
	s_mov_b64 s[20:21], 0
.LBB8_306:                              ;   Parent Loop BB8_296 Depth=1
                                        ; =>  This Inner Loop Header: Depth=2
	s_add_u32 s22, s6, s20
	s_addc_u32 s23, s7, s21
	global_load_ubyte v4, v28, s[22:23]
	s_add_u32 s20, s20, 1
	s_addc_u32 s21, s21, 0
	s_waitcnt vmcnt(0)
	v_and_b32_e32 v27, 0xffff, v4
	v_lshlrev_b64 v[4:5], s18, v[27:28]
	s_add_u32 s18, s18, 8
	s_addc_u32 s19, s19, 0
	v_or_b32_e32 v12, v4, v12
	s_cmp_lg_u32 s11, s20
	v_or_b32_e32 v13, v5, v13
	s_cbranch_scc1 .LBB8_306
	s_branch .LBB8_309
.LBB8_307:                              ;   in Loop: Header=BB8_296 Depth=1
                                        ; implicit-def: $vgpr12_vgpr13
                                        ; implicit-def: $sgpr22
	s_branch .LBB8_310
.LBB8_308:                              ;   in Loop: Header=BB8_296 Depth=1
	v_mov_b32_e32 v12, 0
	v_mov_b32_e32 v13, 0
.LBB8_309:                              ;   in Loop: Header=BB8_296 Depth=1
	s_mov_b32 s22, 0
	s_cbranch_execnz .LBB8_311
.LBB8_310:                              ;   in Loop: Header=BB8_296 Depth=1
	global_load_dwordx2 v[12:13], v28, s[6:7]
	s_add_i32 s22, s11, -8
	s_add_u32 s6, s6, 8
	s_addc_u32 s7, s7, 0
.LBB8_311:                              ;   in Loop: Header=BB8_296 Depth=1
	s_cmp_gt_u32 s22, 7
	s_cbranch_scc1 .LBB8_315
; %bb.312:                              ;   in Loop: Header=BB8_296 Depth=1
	s_cmp_eq_u32 s22, 0
	s_cbranch_scc1 .LBB8_316
; %bb.313:                              ;   in Loop: Header=BB8_296 Depth=1
	v_mov_b32_e32 v14, 0
	s_mov_b64 s[18:19], 0
	v_mov_b32_e32 v15, 0
	s_mov_b64 s[20:21], 0
.LBB8_314:                              ;   Parent Loop BB8_296 Depth=1
                                        ; =>  This Inner Loop Header: Depth=2
	s_add_u32 s24, s6, s20
	s_addc_u32 s25, s7, s21
	global_load_ubyte v4, v28, s[24:25]
	s_add_u32 s20, s20, 1
	s_addc_u32 s21, s21, 0
	s_waitcnt vmcnt(0)
	v_and_b32_e32 v27, 0xffff, v4
	v_lshlrev_b64 v[4:5], s18, v[27:28]
	s_add_u32 s18, s18, 8
	s_addc_u32 s19, s19, 0
	v_or_b32_e32 v14, v4, v14
	s_cmp_lg_u32 s22, s20
	v_or_b32_e32 v15, v5, v15
	s_cbranch_scc1 .LBB8_314
	s_branch .LBB8_317
.LBB8_315:                              ;   in Loop: Header=BB8_296 Depth=1
                                        ; implicit-def: $sgpr11
	s_branch .LBB8_318
.LBB8_316:                              ;   in Loop: Header=BB8_296 Depth=1
	v_mov_b32_e32 v14, 0
	v_mov_b32_e32 v15, 0
.LBB8_317:                              ;   in Loop: Header=BB8_296 Depth=1
	s_mov_b32 s11, 0
	s_cbranch_execnz .LBB8_319
.LBB8_318:                              ;   in Loop: Header=BB8_296 Depth=1
	global_load_dwordx2 v[14:15], v28, s[6:7]
	s_add_i32 s11, s22, -8
	s_add_u32 s6, s6, 8
	s_addc_u32 s7, s7, 0
.LBB8_319:                              ;   in Loop: Header=BB8_296 Depth=1
	s_cmp_gt_u32 s11, 7
	s_cbranch_scc1 .LBB8_323
; %bb.320:                              ;   in Loop: Header=BB8_296 Depth=1
	s_cmp_eq_u32 s11, 0
	s_cbranch_scc1 .LBB8_324
; %bb.321:                              ;   in Loop: Header=BB8_296 Depth=1
	v_mov_b32_e32 v16, 0
	s_mov_b64 s[18:19], 0
	v_mov_b32_e32 v17, 0
	s_mov_b64 s[20:21], 0
.LBB8_322:                              ;   Parent Loop BB8_296 Depth=1
                                        ; =>  This Inner Loop Header: Depth=2
	s_add_u32 s22, s6, s20
	s_addc_u32 s23, s7, s21
	global_load_ubyte v4, v28, s[22:23]
	s_add_u32 s20, s20, 1
	s_addc_u32 s21, s21, 0
	s_waitcnt vmcnt(0)
	v_and_b32_e32 v27, 0xffff, v4
	v_lshlrev_b64 v[4:5], s18, v[27:28]
	s_add_u32 s18, s18, 8
	s_addc_u32 s19, s19, 0
	v_or_b32_e32 v16, v4, v16
	s_cmp_lg_u32 s11, s20
	v_or_b32_e32 v17, v5, v17
	s_cbranch_scc1 .LBB8_322
	s_branch .LBB8_325
.LBB8_323:                              ;   in Loop: Header=BB8_296 Depth=1
                                        ; implicit-def: $vgpr16_vgpr17
                                        ; implicit-def: $sgpr22
	s_branch .LBB8_326
.LBB8_324:                              ;   in Loop: Header=BB8_296 Depth=1
	v_mov_b32_e32 v16, 0
	v_mov_b32_e32 v17, 0
.LBB8_325:                              ;   in Loop: Header=BB8_296 Depth=1
	s_mov_b32 s22, 0
	s_cbranch_execnz .LBB8_327
.LBB8_326:                              ;   in Loop: Header=BB8_296 Depth=1
	global_load_dwordx2 v[16:17], v28, s[6:7]
	s_add_i32 s22, s11, -8
	s_add_u32 s6, s6, 8
	s_addc_u32 s7, s7, 0
.LBB8_327:                              ;   in Loop: Header=BB8_296 Depth=1
	s_cmp_gt_u32 s22, 7
	s_cbranch_scc1 .LBB8_331
; %bb.328:                              ;   in Loop: Header=BB8_296 Depth=1
	s_cmp_eq_u32 s22, 0
	s_cbranch_scc1 .LBB8_332
; %bb.329:                              ;   in Loop: Header=BB8_296 Depth=1
	v_mov_b32_e32 v18, 0
	s_mov_b64 s[18:19], 0
	v_mov_b32_e32 v19, 0
	s_mov_b64 s[20:21], 0
.LBB8_330:                              ;   Parent Loop BB8_296 Depth=1
                                        ; =>  This Inner Loop Header: Depth=2
	s_add_u32 s24, s6, s20
	s_addc_u32 s25, s7, s21
	global_load_ubyte v4, v28, s[24:25]
	s_add_u32 s20, s20, 1
	s_addc_u32 s21, s21, 0
	s_waitcnt vmcnt(0)
	v_and_b32_e32 v27, 0xffff, v4
	v_lshlrev_b64 v[4:5], s18, v[27:28]
	s_add_u32 s18, s18, 8
	s_addc_u32 s19, s19, 0
	v_or_b32_e32 v18, v4, v18
	s_cmp_lg_u32 s22, s20
	v_or_b32_e32 v19, v5, v19
	s_cbranch_scc1 .LBB8_330
	s_branch .LBB8_333
.LBB8_331:                              ;   in Loop: Header=BB8_296 Depth=1
                                        ; implicit-def: $sgpr11
	s_branch .LBB8_334
.LBB8_332:                              ;   in Loop: Header=BB8_296 Depth=1
	v_mov_b32_e32 v18, 0
	v_mov_b32_e32 v19, 0
.LBB8_333:                              ;   in Loop: Header=BB8_296 Depth=1
	s_mov_b32 s11, 0
	s_cbranch_execnz .LBB8_335
.LBB8_334:                              ;   in Loop: Header=BB8_296 Depth=1
	global_load_dwordx2 v[18:19], v28, s[6:7]
	s_add_i32 s11, s22, -8
	s_add_u32 s6, s6, 8
	s_addc_u32 s7, s7, 0
.LBB8_335:                              ;   in Loop: Header=BB8_296 Depth=1
	s_cmp_gt_u32 s11, 7
	s_cbranch_scc1 .LBB8_339
; %bb.336:                              ;   in Loop: Header=BB8_296 Depth=1
	s_cmp_eq_u32 s11, 0
	s_cbranch_scc1 .LBB8_340
; %bb.337:                              ;   in Loop: Header=BB8_296 Depth=1
	v_mov_b32_e32 v20, 0
	s_mov_b64 s[18:19], 0
	v_mov_b32_e32 v21, 0
	s_mov_b64 s[20:21], 0
.LBB8_338:                              ;   Parent Loop BB8_296 Depth=1
                                        ; =>  This Inner Loop Header: Depth=2
	s_add_u32 s22, s6, s20
	s_addc_u32 s23, s7, s21
	global_load_ubyte v4, v28, s[22:23]
	s_add_u32 s20, s20, 1
	s_addc_u32 s21, s21, 0
	s_waitcnt vmcnt(0)
	v_and_b32_e32 v27, 0xffff, v4
	v_lshlrev_b64 v[4:5], s18, v[27:28]
	s_add_u32 s18, s18, 8
	s_addc_u32 s19, s19, 0
	v_or_b32_e32 v20, v4, v20
	s_cmp_lg_u32 s11, s20
	v_or_b32_e32 v21, v5, v21
	s_cbranch_scc1 .LBB8_338
	s_branch .LBB8_341
.LBB8_339:                              ;   in Loop: Header=BB8_296 Depth=1
                                        ; implicit-def: $vgpr20_vgpr21
                                        ; implicit-def: $sgpr22
	s_branch .LBB8_342
.LBB8_340:                              ;   in Loop: Header=BB8_296 Depth=1
	v_mov_b32_e32 v20, 0
	v_mov_b32_e32 v21, 0
.LBB8_341:                              ;   in Loop: Header=BB8_296 Depth=1
	s_mov_b32 s22, 0
	s_cbranch_execnz .LBB8_343
.LBB8_342:                              ;   in Loop: Header=BB8_296 Depth=1
	global_load_dwordx2 v[20:21], v28, s[6:7]
	s_add_i32 s22, s11, -8
	s_add_u32 s6, s6, 8
	s_addc_u32 s7, s7, 0
.LBB8_343:                              ;   in Loop: Header=BB8_296 Depth=1
	s_cmp_gt_u32 s22, 7
	s_cbranch_scc1 .LBB8_347
; %bb.344:                              ;   in Loop: Header=BB8_296 Depth=1
	s_cmp_eq_u32 s22, 0
	s_cbranch_scc1 .LBB8_348
; %bb.345:                              ;   in Loop: Header=BB8_296 Depth=1
	v_mov_b32_e32 v22, 0
	s_mov_b64 s[18:19], 0
	v_mov_b32_e32 v23, 0
	s_mov_b64 s[20:21], s[6:7]
.LBB8_346:                              ;   Parent Loop BB8_296 Depth=1
                                        ; =>  This Inner Loop Header: Depth=2
	global_load_ubyte v4, v28, s[20:21]
	s_add_i32 s22, s22, -1
	s_waitcnt vmcnt(0)
	v_and_b32_e32 v27, 0xffff, v4
	v_lshlrev_b64 v[4:5], s18, v[27:28]
	s_add_u32 s18, s18, 8
	s_addc_u32 s19, s19, 0
	s_add_u32 s20, s20, 1
	s_addc_u32 s21, s21, 0
	v_or_b32_e32 v22, v4, v22
	s_cmp_lg_u32 s22, 0
	v_or_b32_e32 v23, v5, v23
	s_cbranch_scc1 .LBB8_346
	s_branch .LBB8_349
.LBB8_347:                              ;   in Loop: Header=BB8_296 Depth=1
	s_branch .LBB8_350
.LBB8_348:                              ;   in Loop: Header=BB8_296 Depth=1
	v_mov_b32_e32 v22, 0
	v_mov_b32_e32 v23, 0
.LBB8_349:                              ;   in Loop: Header=BB8_296 Depth=1
	s_cbranch_execnz .LBB8_351
.LBB8_350:                              ;   in Loop: Header=BB8_296 Depth=1
	global_load_dwordx2 v[22:23], v28, s[6:7]
.LBB8_351:                              ;   in Loop: Header=BB8_296 Depth=1
	v_readfirstlane_b32 s6, v43
	s_waitcnt vmcnt(0)
	v_mov_b32_e32 v4, 0
	v_mov_b32_e32 v5, 0
	v_cmp_eq_u32_e64 s[6:7], s6, v43
	s_and_saveexec_b64 s[18:19], s[6:7]
	s_cbranch_execz .LBB8_357
; %bb.352:                              ;   in Loop: Header=BB8_296 Depth=1
	global_load_dwordx2 v[26:27], v28, s[50:51] offset:24 glc
	s_waitcnt vmcnt(0)
	buffer_wbinvl1_vol
	global_load_dwordx2 v[4:5], v28, s[50:51] offset:40
	global_load_dwordx2 v[8:9], v28, s[50:51]
	s_waitcnt vmcnt(1)
	v_and_b32_e32 v4, v4, v26
	v_and_b32_e32 v5, v5, v27
	v_mul_lo_u32 v5, v5, 24
	v_mul_hi_u32 v24, v4, 24
	v_mul_lo_u32 v4, v4, 24
	v_add_u32_e32 v5, v24, v5
	s_waitcnt vmcnt(0)
	v_add_co_u32_e32 v4, vcc, v8, v4
	v_addc_co_u32_e32 v5, vcc, v9, v5, vcc
	global_load_dwordx2 v[24:25], v[4:5], off glc
	s_waitcnt vmcnt(0)
	global_atomic_cmpswap_x2 v[4:5], v28, v[24:27], s[50:51] offset:24 glc
	s_waitcnt vmcnt(0)
	buffer_wbinvl1_vol
	v_cmp_ne_u64_e32 vcc, v[4:5], v[26:27]
	s_and_saveexec_b64 s[20:21], vcc
	s_cbranch_execz .LBB8_356
; %bb.353:                              ;   in Loop: Header=BB8_296 Depth=1
	s_mov_b64 s[22:23], 0
.LBB8_354:                              ;   Parent Loop BB8_296 Depth=1
                                        ; =>  This Inner Loop Header: Depth=2
	s_sleep 1
	global_load_dwordx2 v[8:9], v28, s[50:51] offset:40
	global_load_dwordx2 v[24:25], v28, s[50:51]
	v_mov_b32_e32 v27, v5
	v_mov_b32_e32 v26, v4
	s_waitcnt vmcnt(1)
	v_and_b32_e32 v4, v8, v26
	s_waitcnt vmcnt(0)
	v_mad_u64_u32 v[4:5], s[24:25], v4, 24, v[24:25]
	v_and_b32_e32 v8, v9, v27
	v_mad_u64_u32 v[8:9], s[24:25], v8, 24, v[5:6]
	v_mov_b32_e32 v5, v8
	global_load_dwordx2 v[24:25], v[4:5], off glc
	s_waitcnt vmcnt(0)
	global_atomic_cmpswap_x2 v[4:5], v28, v[24:27], s[50:51] offset:24 glc
	s_waitcnt vmcnt(0)
	buffer_wbinvl1_vol
	v_cmp_eq_u64_e32 vcc, v[4:5], v[26:27]
	s_or_b64 s[22:23], vcc, s[22:23]
	s_andn2_b64 exec, exec, s[22:23]
	s_cbranch_execnz .LBB8_354
; %bb.355:                              ;   in Loop: Header=BB8_296 Depth=1
	s_or_b64 exec, exec, s[22:23]
.LBB8_356:                              ;   in Loop: Header=BB8_296 Depth=1
	s_or_b64 exec, exec, s[20:21]
.LBB8_357:                              ;   in Loop: Header=BB8_296 Depth=1
	s_or_b64 exec, exec, s[18:19]
	global_load_dwordx2 v[8:9], v28, s[50:51] offset:40
	global_load_dwordx4 v[24:27], v28, s[50:51]
	v_readfirstlane_b32 s18, v4
	v_readfirstlane_b32 s19, v5
	s_mov_b64 s[22:23], exec
	s_waitcnt vmcnt(1)
	v_readfirstlane_b32 s20, v8
	v_readfirstlane_b32 s21, v9
	s_and_b64 s[20:21], s[18:19], s[20:21]
	s_mul_i32 s11, s21, 24
	s_mul_hi_u32 s24, s20, 24
	s_mul_i32 s25, s20, 24
	s_add_i32 s11, s24, s11
	v_mov_b32_e32 v4, s11
	s_waitcnt vmcnt(0)
	v_add_co_u32_e32 v29, vcc, s25, v24
	v_addc_co_u32_e32 v30, vcc, v25, v4, vcc
	s_and_saveexec_b64 s[24:25], s[6:7]
	s_cbranch_execz .LBB8_359
; %bb.358:                              ;   in Loop: Header=BB8_296 Depth=1
	v_mov_b32_e32 v4, s22
	v_mov_b32_e32 v5, s23
	global_store_dwordx4 v[29:30], v[4:7], off offset:8
.LBB8_359:                              ;   in Loop: Header=BB8_296 Depth=1
	s_or_b64 exec, exec, s[24:25]
	v_cmp_gt_u64_e64 vcc, s[14:15], 56
	v_or_b32_e32 v4, 0, v3
	v_cndmask_b32_e32 v9, v4, v3, vcc
	v_or_b32_e32 v3, v2, v31
	s_lshl_b32 s11, s16, 2
	v_cndmask_b32_e32 v2, v3, v2, vcc
	s_add_i32 s11, s11, 28
	s_and_b32 s11, s11, 0x1e0
	v_and_b32_e32 v2, 0xffffff1f, v2
	s_lshl_b64 s[20:21], s[20:21], 12
	v_or_b32_e32 v8, s11, v2
	v_mov_b32_e32 v2, s21
	v_add_co_u32_e32 v26, vcc, s20, v26
	v_addc_co_u32_e32 v32, vcc, v27, v2, vcc
	v_readfirstlane_b32 s20, v26
	v_readfirstlane_b32 s21, v32
	s_nop 4
	global_store_dwordx4 v42, v[8:11], s[20:21]
	global_store_dwordx4 v42, v[12:15], s[20:21] offset:16
	global_store_dwordx4 v42, v[16:19], s[20:21] offset:32
	;; [unrolled: 1-line block ×3, first 2 shown]
	s_and_saveexec_b64 s[20:21], s[6:7]
	s_cbranch_execz .LBB8_367
; %bb.360:                              ;   in Loop: Header=BB8_296 Depth=1
	global_load_dwordx2 v[12:13], v28, s[50:51] offset:32 glc
	global_load_dwordx2 v[2:3], v28, s[50:51] offset:40
	v_mov_b32_e32 v10, s18
	v_mov_b32_e32 v11, s19
	s_waitcnt vmcnt(0)
	v_readfirstlane_b32 s22, v2
	v_readfirstlane_b32 s23, v3
	s_and_b64 s[22:23], s[22:23], s[18:19]
	s_mul_i32 s11, s23, 24
	s_mul_hi_u32 s23, s22, 24
	s_mul_i32 s22, s22, 24
	s_add_i32 s11, s23, s11
	v_mov_b32_e32 v2, s11
	v_add_co_u32_e32 v8, vcc, s22, v24
	v_addc_co_u32_e32 v9, vcc, v25, v2, vcc
	global_store_dwordx2 v[8:9], v[12:13], off
	s_waitcnt vmcnt(0)
	global_atomic_cmpswap_x2 v[4:5], v28, v[10:13], s[50:51] offset:32 glc
	s_waitcnt vmcnt(0)
	v_cmp_ne_u64_e32 vcc, v[4:5], v[12:13]
	s_and_saveexec_b64 s[22:23], vcc
	s_cbranch_execz .LBB8_363
; %bb.361:                              ;   in Loop: Header=BB8_296 Depth=1
	s_mov_b64 s[24:25], 0
.LBB8_362:                              ;   Parent Loop BB8_296 Depth=1
                                        ; =>  This Inner Loop Header: Depth=2
	s_sleep 1
	global_store_dwordx2 v[8:9], v[4:5], off
	v_mov_b32_e32 v2, s18
	v_mov_b32_e32 v3, s19
	s_waitcnt vmcnt(0)
	global_atomic_cmpswap_x2 v[2:3], v28, v[2:5], s[50:51] offset:32 glc
	s_waitcnt vmcnt(0)
	v_cmp_eq_u64_e32 vcc, v[2:3], v[4:5]
	v_mov_b32_e32 v5, v3
	s_or_b64 s[24:25], vcc, s[24:25]
	v_mov_b32_e32 v4, v2
	s_andn2_b64 exec, exec, s[24:25]
	s_cbranch_execnz .LBB8_362
.LBB8_363:                              ;   in Loop: Header=BB8_296 Depth=1
	s_or_b64 exec, exec, s[22:23]
	global_load_dwordx2 v[2:3], v28, s[50:51] offset:16
	s_mov_b64 s[24:25], exec
	v_mbcnt_lo_u32_b32 v4, s24, 0
	v_mbcnt_hi_u32_b32 v4, s25, v4
	v_cmp_eq_u32_e32 vcc, 0, v4
	s_and_saveexec_b64 s[22:23], vcc
	s_cbranch_execz .LBB8_365
; %bb.364:                              ;   in Loop: Header=BB8_296 Depth=1
	s_bcnt1_i32_b64 s11, s[24:25]
	v_mov_b32_e32 v27, s11
	s_waitcnt vmcnt(0)
	global_atomic_add_x2 v[2:3], v[27:28], off offset:8
.LBB8_365:                              ;   in Loop: Header=BB8_296 Depth=1
	s_or_b64 exec, exec, s[22:23]
	s_waitcnt vmcnt(0)
	global_load_dwordx2 v[4:5], v[2:3], off offset:16
	s_waitcnt vmcnt(0)
	v_cmp_eq_u64_e32 vcc, 0, v[4:5]
	s_cbranch_vccnz .LBB8_367
; %bb.366:                              ;   in Loop: Header=BB8_296 Depth=1
	global_load_dword v27, v[2:3], off offset:24
	s_waitcnt vmcnt(0)
	v_and_b32_e32 v2, 0xffffff, v27
	v_readfirstlane_b32 m0, v2
	global_store_dwordx2 v[4:5], v[27:28], off
	s_sendmsg sendmsg(MSG_INTERRUPT)
.LBB8_367:                              ;   in Loop: Header=BB8_296 Depth=1
	s_or_b64 exec, exec, s[20:21]
	v_add_co_u32_e32 v2, vcc, v26, v42
	v_addc_co_u32_e32 v3, vcc, 0, v32, vcc
	s_branch .LBB8_371
.LBB8_368:                              ;   in Loop: Header=BB8_371 Depth=2
	s_or_b64 exec, exec, s[20:21]
	v_readfirstlane_b32 s11, v4
	s_cmp_eq_u32 s11, 0
	s_cbranch_scc1 .LBB8_370
; %bb.369:                              ;   in Loop: Header=BB8_371 Depth=2
	s_sleep 1
	s_cbranch_execnz .LBB8_371
	s_branch .LBB8_373
.LBB8_370:                              ;   in Loop: Header=BB8_296 Depth=1
	s_branch .LBB8_373
.LBB8_371:                              ;   Parent Loop BB8_296 Depth=1
                                        ; =>  This Inner Loop Header: Depth=2
	v_mov_b32_e32 v4, 1
	s_and_saveexec_b64 s[20:21], s[6:7]
	s_cbranch_execz .LBB8_368
; %bb.372:                              ;   in Loop: Header=BB8_371 Depth=2
	global_load_dword v4, v[29:30], off offset:20 glc
	s_waitcnt vmcnt(0)
	buffer_wbinvl1_vol
	v_and_b32_e32 v4, 1, v4
	s_branch .LBB8_368
.LBB8_373:                              ;   in Loop: Header=BB8_296 Depth=1
	global_load_dwordx4 v[2:5], v[2:3], off
	s_and_saveexec_b64 s[20:21], s[6:7]
	s_cbranch_execz .LBB8_295
; %bb.374:                              ;   in Loop: Header=BB8_296 Depth=1
	global_load_dwordx2 v[4:5], v28, s[50:51] offset:40
	global_load_dwordx2 v[12:13], v28, s[50:51] offset:24 glc
	global_load_dwordx2 v[14:15], v28, s[50:51]
	v_mov_b32_e32 v9, s19
	s_waitcnt vmcnt(2)
	v_add_co_u32_e32 v10, vcc, 1, v4
	v_addc_co_u32_e32 v11, vcc, 0, v5, vcc
	v_add_co_u32_e32 v8, vcc, s18, v10
	v_addc_co_u32_e32 v9, vcc, v11, v9, vcc
	v_cmp_eq_u64_e32 vcc, 0, v[8:9]
	v_cndmask_b32_e32 v9, v9, v11, vcc
	v_cndmask_b32_e32 v8, v8, v10, vcc
	v_and_b32_e32 v5, v9, v5
	v_and_b32_e32 v4, v8, v4
	v_mul_lo_u32 v5, v5, 24
	v_mul_hi_u32 v11, v4, 24
	v_mul_lo_u32 v4, v4, 24
	s_waitcnt vmcnt(1)
	v_mov_b32_e32 v10, v12
	v_add_u32_e32 v5, v11, v5
	s_waitcnt vmcnt(0)
	v_add_co_u32_e32 v4, vcc, v14, v4
	v_addc_co_u32_e32 v5, vcc, v15, v5, vcc
	global_store_dwordx2 v[4:5], v[12:13], off
	v_mov_b32_e32 v11, v13
	s_waitcnt vmcnt(0)
	global_atomic_cmpswap_x2 v[10:11], v28, v[8:11], s[50:51] offset:24 glc
	s_waitcnt vmcnt(0)
	v_cmp_ne_u64_e32 vcc, v[10:11], v[12:13]
	s_and_b64 exec, exec, vcc
	s_cbranch_execz .LBB8_295
; %bb.375:                              ;   in Loop: Header=BB8_296 Depth=1
	s_mov_b64 s[6:7], 0
.LBB8_376:                              ;   Parent Loop BB8_296 Depth=1
                                        ; =>  This Inner Loop Header: Depth=2
	s_sleep 1
	global_store_dwordx2 v[4:5], v[10:11], off
	s_waitcnt vmcnt(0)
	global_atomic_cmpswap_x2 v[12:13], v28, v[8:11], s[50:51] offset:24 glc
	s_waitcnt vmcnt(0)
	v_cmp_eq_u64_e32 vcc, v[12:13], v[10:11]
	v_mov_b32_e32 v10, v12
	s_or_b64 s[6:7], vcc, s[6:7]
	v_mov_b32_e32 v11, v13
	s_andn2_b64 exec, exec, s[6:7]
	s_cbranch_execnz .LBB8_376
	s_branch .LBB8_295
.LBB8_377:
	s_mov_b64 s[6:7], 0
	s_branch .LBB8_379
.LBB8_378:
	s_mov_b64 s[6:7], -1
                                        ; implicit-def: $vgpr2_vgpr3
.LBB8_379:
	s_and_b64 vcc, exec, s[6:7]
	s_cbranch_vccz .LBB8_406
; %bb.380:
	v_readfirstlane_b32 s6, v43
	v_mov_b32_e32 v8, 0
	v_mov_b32_e32 v9, 0
	v_cmp_eq_u32_e64 s[6:7], s6, v43
	s_and_saveexec_b64 s[12:13], s[6:7]
	s_cbranch_execz .LBB8_386
; %bb.381:
	s_waitcnt vmcnt(0)
	v_mov_b32_e32 v2, 0
	global_load_dwordx2 v[5:6], v2, s[50:51] offset:24 glc
	s_waitcnt vmcnt(0)
	buffer_wbinvl1_vol
	global_load_dwordx2 v[3:4], v2, s[50:51] offset:40
	global_load_dwordx2 v[7:8], v2, s[50:51]
	s_waitcnt vmcnt(1)
	v_and_b32_e32 v3, v3, v5
	v_and_b32_e32 v4, v4, v6
	v_mul_lo_u32 v4, v4, 24
	v_mul_hi_u32 v9, v3, 24
	v_mul_lo_u32 v3, v3, 24
	v_add_u32_e32 v4, v9, v4
	s_waitcnt vmcnt(0)
	v_add_co_u32_e32 v3, vcc, v7, v3
	v_addc_co_u32_e32 v4, vcc, v8, v4, vcc
	global_load_dwordx2 v[3:4], v[3:4], off glc
	s_waitcnt vmcnt(0)
	global_atomic_cmpswap_x2 v[8:9], v2, v[3:6], s[50:51] offset:24 glc
	s_waitcnt vmcnt(0)
	buffer_wbinvl1_vol
	v_cmp_ne_u64_e32 vcc, v[8:9], v[5:6]
	s_and_saveexec_b64 s[14:15], vcc
	s_cbranch_execz .LBB8_385
; %bb.382:
	s_mov_b64 s[16:17], 0
.LBB8_383:                              ; =>This Inner Loop Header: Depth=1
	s_sleep 1
	global_load_dwordx2 v[3:4], v2, s[50:51] offset:40
	global_load_dwordx2 v[10:11], v2, s[50:51]
	v_mov_b32_e32 v5, v8
	v_mov_b32_e32 v6, v9
	s_waitcnt vmcnt(1)
	v_and_b32_e32 v3, v3, v5
	s_waitcnt vmcnt(0)
	v_mad_u64_u32 v[7:8], s[18:19], v3, 24, v[10:11]
	v_and_b32_e32 v4, v4, v6
	v_mov_b32_e32 v3, v8
	v_mad_u64_u32 v[3:4], s[18:19], v4, 24, v[3:4]
	v_mov_b32_e32 v8, v3
	global_load_dwordx2 v[3:4], v[7:8], off glc
	s_waitcnt vmcnt(0)
	global_atomic_cmpswap_x2 v[8:9], v2, v[3:6], s[50:51] offset:24 glc
	s_waitcnt vmcnt(0)
	buffer_wbinvl1_vol
	v_cmp_eq_u64_e32 vcc, v[8:9], v[5:6]
	s_or_b64 s[16:17], vcc, s[16:17]
	s_andn2_b64 exec, exec, s[16:17]
	s_cbranch_execnz .LBB8_383
; %bb.384:
	s_or_b64 exec, exec, s[16:17]
.LBB8_385:
	s_or_b64 exec, exec, s[14:15]
.LBB8_386:
	s_or_b64 exec, exec, s[12:13]
	s_waitcnt vmcnt(0)
	v_mov_b32_e32 v2, 0
	global_load_dwordx2 v[10:11], v2, s[50:51] offset:40
	global_load_dwordx4 v[4:7], v2, s[50:51]
	v_readfirstlane_b32 s12, v8
	v_readfirstlane_b32 s13, v9
	s_mov_b64 s[14:15], exec
	s_waitcnt vmcnt(1)
	v_readfirstlane_b32 s16, v10
	v_readfirstlane_b32 s17, v11
	s_and_b64 s[16:17], s[12:13], s[16:17]
	s_mul_i32 s11, s17, 24
	s_mul_hi_u32 s18, s16, 24
	s_mul_i32 s19, s16, 24
	s_add_i32 s11, s18, s11
	v_mov_b32_e32 v3, s11
	s_waitcnt vmcnt(0)
	v_add_co_u32_e32 v8, vcc, s19, v4
	v_addc_co_u32_e32 v9, vcc, v5, v3, vcc
	s_and_saveexec_b64 s[18:19], s[6:7]
	s_cbranch_execz .LBB8_388
; %bb.387:
	v_mov_b32_e32 v10, s14
	v_mov_b32_e32 v11, s15
	;; [unrolled: 1-line block ×4, first 2 shown]
	global_store_dwordx4 v[8:9], v[10:13], off offset:8
.LBB8_388:
	s_or_b64 exec, exec, s[18:19]
	s_lshl_b64 s[14:15], s[16:17], 12
	v_mov_b32_e32 v3, s15
	v_add_co_u32_e32 v10, vcc, s14, v6
	v_addc_co_u32_e32 v11, vcc, v7, v3, vcc
	s_movk_i32 s11, 0xff1f
	v_and_or_b32 v0, v0, s11, 32
	s_mov_b32 s16, 0
	v_mov_b32_e32 v3, v2
	v_readfirstlane_b32 s14, v10
	v_readfirstlane_b32 s15, v11
	v_add_co_u32_e32 v6, vcc, v10, v42
	s_mov_b32 s17, s16
	s_mov_b32 s18, s16
	;; [unrolled: 1-line block ×3, first 2 shown]
	s_nop 0
	global_store_dwordx4 v42, v[0:3], s[14:15]
	v_addc_co_u32_e32 v7, vcc, 0, v11, vcc
	v_mov_b32_e32 v0, s16
	v_mov_b32_e32 v1, s17
	;; [unrolled: 1-line block ×4, first 2 shown]
	global_store_dwordx4 v42, v[0:3], s[14:15] offset:16
	global_store_dwordx4 v42, v[0:3], s[14:15] offset:32
	;; [unrolled: 1-line block ×3, first 2 shown]
	s_and_saveexec_b64 s[14:15], s[6:7]
	s_cbranch_execz .LBB8_396
; %bb.389:
	v_mov_b32_e32 v10, 0
	global_load_dwordx2 v[13:14], v10, s[50:51] offset:32 glc
	global_load_dwordx2 v[0:1], v10, s[50:51] offset:40
	v_mov_b32_e32 v11, s12
	v_mov_b32_e32 v12, s13
	s_waitcnt vmcnt(0)
	v_readfirstlane_b32 s16, v0
	v_readfirstlane_b32 s17, v1
	s_and_b64 s[16:17], s[16:17], s[12:13]
	s_mul_i32 s11, s17, 24
	s_mul_hi_u32 s17, s16, 24
	s_mul_i32 s16, s16, 24
	s_add_i32 s11, s17, s11
	v_mov_b32_e32 v0, s11
	v_add_co_u32_e32 v4, vcc, s16, v4
	v_addc_co_u32_e32 v5, vcc, v5, v0, vcc
	global_store_dwordx2 v[4:5], v[13:14], off
	s_waitcnt vmcnt(0)
	global_atomic_cmpswap_x2 v[2:3], v10, v[11:14], s[50:51] offset:32 glc
	s_waitcnt vmcnt(0)
	v_cmp_ne_u64_e32 vcc, v[2:3], v[13:14]
	s_and_saveexec_b64 s[16:17], vcc
	s_cbranch_execz .LBB8_392
; %bb.390:
	s_mov_b64 s[18:19], 0
.LBB8_391:                              ; =>This Inner Loop Header: Depth=1
	s_sleep 1
	global_store_dwordx2 v[4:5], v[2:3], off
	v_mov_b32_e32 v0, s12
	v_mov_b32_e32 v1, s13
	s_waitcnt vmcnt(0)
	global_atomic_cmpswap_x2 v[0:1], v10, v[0:3], s[50:51] offset:32 glc
	s_waitcnt vmcnt(0)
	v_cmp_eq_u64_e32 vcc, v[0:1], v[2:3]
	v_mov_b32_e32 v3, v1
	s_or_b64 s[18:19], vcc, s[18:19]
	v_mov_b32_e32 v2, v0
	s_andn2_b64 exec, exec, s[18:19]
	s_cbranch_execnz .LBB8_391
.LBB8_392:
	s_or_b64 exec, exec, s[16:17]
	v_mov_b32_e32 v3, 0
	global_load_dwordx2 v[0:1], v3, s[50:51] offset:16
	s_mov_b64 s[16:17], exec
	v_mbcnt_lo_u32_b32 v2, s16, 0
	v_mbcnt_hi_u32_b32 v2, s17, v2
	v_cmp_eq_u32_e32 vcc, 0, v2
	s_and_saveexec_b64 s[18:19], vcc
	s_cbranch_execz .LBB8_394
; %bb.393:
	s_bcnt1_i32_b64 s11, s[16:17]
	v_mov_b32_e32 v2, s11
	s_waitcnt vmcnt(0)
	global_atomic_add_x2 v[0:1], v[2:3], off offset:8
.LBB8_394:
	s_or_b64 exec, exec, s[18:19]
	s_waitcnt vmcnt(0)
	global_load_dwordx2 v[2:3], v[0:1], off offset:16
	s_waitcnt vmcnt(0)
	v_cmp_eq_u64_e32 vcc, 0, v[2:3]
	s_cbranch_vccnz .LBB8_396
; %bb.395:
	global_load_dword v0, v[0:1], off offset:24
	v_mov_b32_e32 v1, 0
	s_waitcnt vmcnt(0)
	global_store_dwordx2 v[2:3], v[0:1], off
	v_and_b32_e32 v0, 0xffffff, v0
	v_readfirstlane_b32 m0, v0
	s_sendmsg sendmsg(MSG_INTERRUPT)
.LBB8_396:
	s_or_b64 exec, exec, s[14:15]
	s_branch .LBB8_400
.LBB8_397:                              ;   in Loop: Header=BB8_400 Depth=1
	s_or_b64 exec, exec, s[14:15]
	v_readfirstlane_b32 s11, v0
	s_cmp_eq_u32 s11, 0
	s_cbranch_scc1 .LBB8_399
; %bb.398:                              ;   in Loop: Header=BB8_400 Depth=1
	s_sleep 1
	s_cbranch_execnz .LBB8_400
	s_branch .LBB8_402
.LBB8_399:
	s_branch .LBB8_402
.LBB8_400:                              ; =>This Inner Loop Header: Depth=1
	v_mov_b32_e32 v0, 1
	s_and_saveexec_b64 s[14:15], s[6:7]
	s_cbranch_execz .LBB8_397
; %bb.401:                              ;   in Loop: Header=BB8_400 Depth=1
	global_load_dword v0, v[8:9], off offset:20 glc
	s_waitcnt vmcnt(0)
	buffer_wbinvl1_vol
	v_and_b32_e32 v0, 1, v0
	s_branch .LBB8_397
.LBB8_402:
	global_load_dwordx2 v[2:3], v[6:7], off
	s_and_saveexec_b64 s[14:15], s[6:7]
	s_cbranch_execz .LBB8_405
; %bb.403:
	v_mov_b32_e32 v8, 0
	global_load_dwordx2 v[0:1], v8, s[50:51] offset:40
	global_load_dwordx2 v[9:10], v8, s[50:51] offset:24 glc
	global_load_dwordx2 v[11:12], v8, s[50:51]
	v_mov_b32_e32 v5, s13
	s_mov_b64 s[6:7], 0
	s_waitcnt vmcnt(2)
	v_add_co_u32_e32 v6, vcc, 1, v0
	v_addc_co_u32_e32 v7, vcc, 0, v1, vcc
	v_add_co_u32_e32 v4, vcc, s12, v6
	v_addc_co_u32_e32 v5, vcc, v7, v5, vcc
	v_cmp_eq_u64_e32 vcc, 0, v[4:5]
	v_cndmask_b32_e32 v5, v5, v7, vcc
	v_cndmask_b32_e32 v4, v4, v6, vcc
	v_and_b32_e32 v1, v5, v1
	v_and_b32_e32 v0, v4, v0
	v_mul_lo_u32 v1, v1, 24
	v_mul_hi_u32 v7, v0, 24
	v_mul_lo_u32 v0, v0, 24
	s_waitcnt vmcnt(1)
	v_mov_b32_e32 v6, v9
	v_add_u32_e32 v1, v7, v1
	s_waitcnt vmcnt(0)
	v_add_co_u32_e32 v0, vcc, v11, v0
	v_addc_co_u32_e32 v1, vcc, v12, v1, vcc
	global_store_dwordx2 v[0:1], v[9:10], off
	v_mov_b32_e32 v7, v10
	s_waitcnt vmcnt(0)
	global_atomic_cmpswap_x2 v[6:7], v8, v[4:7], s[50:51] offset:24 glc
	s_waitcnt vmcnt(0)
	v_cmp_ne_u64_e32 vcc, v[6:7], v[9:10]
	s_and_b64 exec, exec, vcc
	s_cbranch_execz .LBB8_405
.LBB8_404:                              ; =>This Inner Loop Header: Depth=1
	s_sleep 1
	global_store_dwordx2 v[0:1], v[6:7], off
	s_waitcnt vmcnt(0)
	global_atomic_cmpswap_x2 v[9:10], v8, v[4:7], s[50:51] offset:24 glc
	s_waitcnt vmcnt(0)
	v_cmp_eq_u64_e32 vcc, v[9:10], v[6:7]
	v_mov_b32_e32 v6, v9
	s_or_b64 s[6:7], vcc, s[6:7]
	v_mov_b32_e32 v7, v10
	s_andn2_b64 exec, exec, s[6:7]
	s_cbranch_execnz .LBB8_404
.LBB8_405:
	s_or_b64 exec, exec, s[14:15]
.LBB8_406:
	v_readfirstlane_b32 s6, v43
	s_waitcnt vmcnt(0)
	v_mov_b32_e32 v0, 0
	v_mov_b32_e32 v1, 0
	v_cmp_eq_u32_e64 s[6:7], s6, v43
	s_and_saveexec_b64 s[12:13], s[6:7]
	s_cbranch_execz .LBB8_412
; %bb.407:
	v_mov_b32_e32 v4, 0
	global_load_dwordx2 v[7:8], v4, s[50:51] offset:24 glc
	s_waitcnt vmcnt(0)
	buffer_wbinvl1_vol
	global_load_dwordx2 v[0:1], v4, s[50:51] offset:40
	global_load_dwordx2 v[5:6], v4, s[50:51]
	s_waitcnt vmcnt(1)
	v_and_b32_e32 v0, v0, v7
	v_and_b32_e32 v1, v1, v8
	v_mul_lo_u32 v1, v1, 24
	v_mul_hi_u32 v9, v0, 24
	v_mul_lo_u32 v0, v0, 24
	v_add_u32_e32 v1, v9, v1
	s_waitcnt vmcnt(0)
	v_add_co_u32_e32 v0, vcc, v5, v0
	v_addc_co_u32_e32 v1, vcc, v6, v1, vcc
	global_load_dwordx2 v[5:6], v[0:1], off glc
	s_waitcnt vmcnt(0)
	global_atomic_cmpswap_x2 v[0:1], v4, v[5:8], s[50:51] offset:24 glc
	s_waitcnt vmcnt(0)
	buffer_wbinvl1_vol
	v_cmp_ne_u64_e32 vcc, v[0:1], v[7:8]
	s_and_saveexec_b64 s[14:15], vcc
	s_cbranch_execz .LBB8_411
; %bb.408:
	s_mov_b64 s[16:17], 0
.LBB8_409:                              ; =>This Inner Loop Header: Depth=1
	s_sleep 1
	global_load_dwordx2 v[5:6], v4, s[50:51] offset:40
	global_load_dwordx2 v[9:10], v4, s[50:51]
	v_mov_b32_e32 v8, v1
	v_mov_b32_e32 v7, v0
	s_waitcnt vmcnt(1)
	v_and_b32_e32 v0, v5, v7
	s_waitcnt vmcnt(0)
	v_mad_u64_u32 v[0:1], s[18:19], v0, 24, v[9:10]
	v_and_b32_e32 v5, v6, v8
	v_mad_u64_u32 v[5:6], s[18:19], v5, 24, v[1:2]
	v_mov_b32_e32 v1, v5
	global_load_dwordx2 v[5:6], v[0:1], off glc
	s_waitcnt vmcnt(0)
	global_atomic_cmpswap_x2 v[0:1], v4, v[5:8], s[50:51] offset:24 glc
	s_waitcnt vmcnt(0)
	buffer_wbinvl1_vol
	v_cmp_eq_u64_e32 vcc, v[0:1], v[7:8]
	s_or_b64 s[16:17], vcc, s[16:17]
	s_andn2_b64 exec, exec, s[16:17]
	s_cbranch_execnz .LBB8_409
; %bb.410:
	s_or_b64 exec, exec, s[16:17]
.LBB8_411:
	s_or_b64 exec, exec, s[14:15]
.LBB8_412:
	s_or_b64 exec, exec, s[12:13]
	v_mov_b32_e32 v5, 0
	global_load_dwordx2 v[10:11], v5, s[50:51] offset:40
	global_load_dwordx4 v[6:9], v5, s[50:51]
	v_readfirstlane_b32 s12, v0
	v_readfirstlane_b32 s13, v1
	s_mov_b64 s[14:15], exec
	s_waitcnt vmcnt(1)
	v_readfirstlane_b32 s16, v10
	v_readfirstlane_b32 s17, v11
	s_and_b64 s[16:17], s[12:13], s[16:17]
	s_mul_i32 s11, s17, 24
	s_mul_hi_u32 s18, s16, 24
	s_mul_i32 s19, s16, 24
	s_add_i32 s11, s18, s11
	v_mov_b32_e32 v0, s11
	s_waitcnt vmcnt(0)
	v_add_co_u32_e32 v10, vcc, s19, v6
	v_addc_co_u32_e32 v11, vcc, v7, v0, vcc
	s_and_saveexec_b64 s[18:19], s[6:7]
	s_cbranch_execz .LBB8_414
; %bb.413:
	v_mov_b32_e32 v12, s14
	v_mov_b32_e32 v13, s15
	;; [unrolled: 1-line block ×4, first 2 shown]
	global_store_dwordx4 v[10:11], v[12:15], off offset:8
.LBB8_414:
	s_or_b64 exec, exec, s[18:19]
	s_lshl_b64 s[14:15], s[16:17], 12
	v_mov_b32_e32 v0, s15
	v_add_co_u32_e32 v1, vcc, s14, v8
	v_addc_co_u32_e32 v0, vcc, v9, v0, vcc
	s_movk_i32 s11, 0xff1d
	v_and_or_b32 v2, v2, s11, 34
	s_mov_b32 s16, 0
	v_mov_b32_e32 v4, 10
	v_readfirstlane_b32 s14, v1
	v_readfirstlane_b32 s15, v0
	s_mov_b32 s17, s16
	s_mov_b32 s18, s16
	s_mov_b32 s19, s16
	s_nop 1
	global_store_dwordx4 v42, v[2:5], s[14:15]
	v_mov_b32_e32 v0, s16
	v_mov_b32_e32 v1, s17
	;; [unrolled: 1-line block ×4, first 2 shown]
	global_store_dwordx4 v42, v[0:3], s[14:15] offset:16
	global_store_dwordx4 v42, v[0:3], s[14:15] offset:32
	;; [unrolled: 1-line block ×3, first 2 shown]
	s_and_saveexec_b64 s[14:15], s[6:7]
	s_cbranch_execz .LBB8_422
; %bb.415:
	v_mov_b32_e32 v8, 0
	global_load_dwordx2 v[14:15], v8, s[50:51] offset:32 glc
	global_load_dwordx2 v[0:1], v8, s[50:51] offset:40
	v_mov_b32_e32 v12, s12
	v_mov_b32_e32 v13, s13
	s_waitcnt vmcnt(0)
	v_readfirstlane_b32 s16, v0
	v_readfirstlane_b32 s17, v1
	s_and_b64 s[16:17], s[16:17], s[12:13]
	s_mul_i32 s11, s17, 24
	s_mul_hi_u32 s17, s16, 24
	s_mul_i32 s16, s16, 24
	s_add_i32 s11, s17, s11
	v_mov_b32_e32 v0, s11
	v_add_co_u32_e32 v4, vcc, s16, v6
	v_addc_co_u32_e32 v5, vcc, v7, v0, vcc
	global_store_dwordx2 v[4:5], v[14:15], off
	s_waitcnt vmcnt(0)
	global_atomic_cmpswap_x2 v[2:3], v8, v[12:15], s[50:51] offset:32 glc
	s_waitcnt vmcnt(0)
	v_cmp_ne_u64_e32 vcc, v[2:3], v[14:15]
	s_and_saveexec_b64 s[16:17], vcc
	s_cbranch_execz .LBB8_418
; %bb.416:
	s_mov_b64 s[18:19], 0
.LBB8_417:                              ; =>This Inner Loop Header: Depth=1
	s_sleep 1
	global_store_dwordx2 v[4:5], v[2:3], off
	v_mov_b32_e32 v0, s12
	v_mov_b32_e32 v1, s13
	s_waitcnt vmcnt(0)
	global_atomic_cmpswap_x2 v[0:1], v8, v[0:3], s[50:51] offset:32 glc
	s_waitcnt vmcnt(0)
	v_cmp_eq_u64_e32 vcc, v[0:1], v[2:3]
	v_mov_b32_e32 v3, v1
	s_or_b64 s[18:19], vcc, s[18:19]
	v_mov_b32_e32 v2, v0
	s_andn2_b64 exec, exec, s[18:19]
	s_cbranch_execnz .LBB8_417
.LBB8_418:
	s_or_b64 exec, exec, s[16:17]
	v_mov_b32_e32 v3, 0
	global_load_dwordx2 v[0:1], v3, s[50:51] offset:16
	s_mov_b64 s[16:17], exec
	v_mbcnt_lo_u32_b32 v2, s16, 0
	v_mbcnt_hi_u32_b32 v2, s17, v2
	v_cmp_eq_u32_e32 vcc, 0, v2
	s_and_saveexec_b64 s[18:19], vcc
	s_cbranch_execz .LBB8_420
; %bb.419:
	s_bcnt1_i32_b64 s11, s[16:17]
	v_mov_b32_e32 v2, s11
	s_waitcnt vmcnt(0)
	global_atomic_add_x2 v[0:1], v[2:3], off offset:8
.LBB8_420:
	s_or_b64 exec, exec, s[18:19]
	s_waitcnt vmcnt(0)
	global_load_dwordx2 v[2:3], v[0:1], off offset:16
	s_waitcnt vmcnt(0)
	v_cmp_eq_u64_e32 vcc, 0, v[2:3]
	s_cbranch_vccnz .LBB8_422
; %bb.421:
	global_load_dword v0, v[0:1], off offset:24
	v_mov_b32_e32 v1, 0
	s_waitcnt vmcnt(0)
	global_store_dwordx2 v[2:3], v[0:1], off
	v_and_b32_e32 v0, 0xffffff, v0
	v_readfirstlane_b32 m0, v0
	s_sendmsg sendmsg(MSG_INTERRUPT)
.LBB8_422:
	s_or_b64 exec, exec, s[14:15]
	s_branch .LBB8_426
.LBB8_423:                              ;   in Loop: Header=BB8_426 Depth=1
	s_or_b64 exec, exec, s[14:15]
	v_readfirstlane_b32 s11, v0
	s_cmp_eq_u32 s11, 0
	s_cbranch_scc1 .LBB8_425
; %bb.424:                              ;   in Loop: Header=BB8_426 Depth=1
	s_sleep 1
	s_cbranch_execnz .LBB8_426
	s_branch .LBB8_428
.LBB8_425:
	s_branch .LBB8_428
.LBB8_426:                              ; =>This Inner Loop Header: Depth=1
	v_mov_b32_e32 v0, 1
	s_and_saveexec_b64 s[14:15], s[6:7]
	s_cbranch_execz .LBB8_423
; %bb.427:                              ;   in Loop: Header=BB8_426 Depth=1
	global_load_dword v0, v[10:11], off offset:20 glc
	s_waitcnt vmcnt(0)
	buffer_wbinvl1_vol
	v_and_b32_e32 v0, 1, v0
	s_branch .LBB8_423
.LBB8_428:
	s_and_saveexec_b64 s[14:15], s[6:7]
	s_cbranch_execz .LBB8_431
; %bb.429:
	v_mov_b32_e32 v6, 0
	global_load_dwordx2 v[2:3], v6, s[50:51] offset:40
	global_load_dwordx2 v[7:8], v6, s[50:51] offset:24 glc
	global_load_dwordx2 v[4:5], v6, s[50:51]
	v_mov_b32_e32 v1, s13
	s_mov_b64 s[6:7], 0
	s_waitcnt vmcnt(2)
	v_add_co_u32_e32 v9, vcc, 1, v2
	v_addc_co_u32_e32 v10, vcc, 0, v3, vcc
	v_add_co_u32_e32 v0, vcc, s12, v9
	v_addc_co_u32_e32 v1, vcc, v10, v1, vcc
	v_cmp_eq_u64_e32 vcc, 0, v[0:1]
	v_cndmask_b32_e32 v1, v1, v10, vcc
	v_cndmask_b32_e32 v0, v0, v9, vcc
	v_and_b32_e32 v3, v1, v3
	v_and_b32_e32 v2, v0, v2
	v_mul_lo_u32 v3, v3, 24
	v_mul_hi_u32 v9, v2, 24
	v_mul_lo_u32 v10, v2, 24
	s_waitcnt vmcnt(1)
	v_mov_b32_e32 v2, v7
	v_add_u32_e32 v3, v9, v3
	s_waitcnt vmcnt(0)
	v_add_co_u32_e32 v4, vcc, v4, v10
	v_addc_co_u32_e32 v5, vcc, v5, v3, vcc
	global_store_dwordx2 v[4:5], v[7:8], off
	v_mov_b32_e32 v3, v8
	s_waitcnt vmcnt(0)
	global_atomic_cmpswap_x2 v[2:3], v6, v[0:3], s[50:51] offset:24 glc
	s_waitcnt vmcnt(0)
	v_cmp_ne_u64_e32 vcc, v[2:3], v[7:8]
	s_and_b64 exec, exec, vcc
	s_cbranch_execz .LBB8_431
.LBB8_430:                              ; =>This Inner Loop Header: Depth=1
	s_sleep 1
	global_store_dwordx2 v[4:5], v[2:3], off
	s_waitcnt vmcnt(0)
	global_atomic_cmpswap_x2 v[7:8], v6, v[0:3], s[50:51] offset:24 glc
	s_waitcnt vmcnt(0)
	v_cmp_eq_u64_e32 vcc, v[7:8], v[2:3]
	v_mov_b32_e32 v2, v7
	s_or_b64 s[6:7], vcc, s[6:7]
	v_mov_b32_e32 v3, v8
	s_andn2_b64 exec, exec, s[6:7]
	s_cbranch_execnz .LBB8_430
.LBB8_431:
	s_or_b64 exec, exec, s[14:15]
	v_readfirstlane_b32 s6, v43
	v_mov_b32_e32 v5, 0
	v_mov_b32_e32 v6, 0
	v_cmp_eq_u32_e64 s[6:7], s6, v43
	s_and_saveexec_b64 s[12:13], s[6:7]
	s_cbranch_execz .LBB8_437
; %bb.432:
	v_mov_b32_e32 v0, 0
	global_load_dwordx2 v[3:4], v0, s[50:51] offset:24 glc
	s_waitcnt vmcnt(0)
	buffer_wbinvl1_vol
	global_load_dwordx2 v[1:2], v0, s[50:51] offset:40
	global_load_dwordx2 v[5:6], v0, s[50:51]
	s_waitcnt vmcnt(1)
	v_and_b32_e32 v1, v1, v3
	v_and_b32_e32 v2, v2, v4
	v_mul_lo_u32 v2, v2, 24
	v_mul_hi_u32 v7, v1, 24
	v_mul_lo_u32 v1, v1, 24
	v_add_u32_e32 v2, v7, v2
	s_waitcnt vmcnt(0)
	v_add_co_u32_e32 v1, vcc, v5, v1
	v_addc_co_u32_e32 v2, vcc, v6, v2, vcc
	global_load_dwordx2 v[1:2], v[1:2], off glc
	s_waitcnt vmcnt(0)
	global_atomic_cmpswap_x2 v[5:6], v0, v[1:4], s[50:51] offset:24 glc
	s_waitcnt vmcnt(0)
	buffer_wbinvl1_vol
	v_cmp_ne_u64_e32 vcc, v[5:6], v[3:4]
	s_and_saveexec_b64 s[14:15], vcc
	s_cbranch_execz .LBB8_436
; %bb.433:
	s_mov_b64 s[16:17], 0
.LBB8_434:                              ; =>This Inner Loop Header: Depth=1
	s_sleep 1
	global_load_dwordx2 v[1:2], v0, s[50:51] offset:40
	global_load_dwordx2 v[7:8], v0, s[50:51]
	v_mov_b32_e32 v3, v5
	v_mov_b32_e32 v4, v6
	s_waitcnt vmcnt(1)
	v_and_b32_e32 v1, v1, v3
	s_waitcnt vmcnt(0)
	v_mad_u64_u32 v[5:6], s[18:19], v1, 24, v[7:8]
	v_and_b32_e32 v2, v2, v4
	v_mov_b32_e32 v1, v6
	v_mad_u64_u32 v[1:2], s[18:19], v2, 24, v[1:2]
	v_mov_b32_e32 v6, v1
	global_load_dwordx2 v[1:2], v[5:6], off glc
	s_waitcnt vmcnt(0)
	global_atomic_cmpswap_x2 v[5:6], v0, v[1:4], s[50:51] offset:24 glc
	s_waitcnt vmcnt(0)
	buffer_wbinvl1_vol
	v_cmp_eq_u64_e32 vcc, v[5:6], v[3:4]
	s_or_b64 s[16:17], vcc, s[16:17]
	s_andn2_b64 exec, exec, s[16:17]
	s_cbranch_execnz .LBB8_434
; %bb.435:
	s_or_b64 exec, exec, s[16:17]
.LBB8_436:
	s_or_b64 exec, exec, s[14:15]
.LBB8_437:
	s_or_b64 exec, exec, s[12:13]
	v_mov_b32_e32 v4, 0
	global_load_dwordx2 v[7:8], v4, s[50:51] offset:40
	global_load_dwordx4 v[0:3], v4, s[50:51]
	v_readfirstlane_b32 s12, v5
	v_readfirstlane_b32 s13, v6
	s_mov_b64 s[14:15], exec
	s_waitcnt vmcnt(1)
	v_readfirstlane_b32 s16, v7
	v_readfirstlane_b32 s17, v8
	s_and_b64 s[16:17], s[12:13], s[16:17]
	s_mul_i32 s11, s17, 24
	s_mul_hi_u32 s18, s16, 24
	s_mul_i32 s19, s16, 24
	s_add_i32 s11, s18, s11
	v_mov_b32_e32 v5, s11
	s_waitcnt vmcnt(0)
	v_add_co_u32_e32 v7, vcc, s19, v0
	v_addc_co_u32_e32 v8, vcc, v1, v5, vcc
	s_and_saveexec_b64 s[18:19], s[6:7]
	s_cbranch_execz .LBB8_439
; %bb.438:
	v_mov_b32_e32 v9, s14
	v_mov_b32_e32 v10, s15
	v_mov_b32_e32 v11, 2
	v_mov_b32_e32 v12, 1
	global_store_dwordx4 v[7:8], v[9:12], off offset:8
.LBB8_439:
	s_or_b64 exec, exec, s[18:19]
	s_lshl_b64 s[14:15], s[16:17], 12
	v_mov_b32_e32 v5, s15
	v_add_co_u32_e32 v2, vcc, s14, v2
	v_addc_co_u32_e32 v11, vcc, v3, v5, vcc
	s_mov_b32 s16, 0
	v_mov_b32_e32 v3, 33
	v_mov_b32_e32 v5, v4
	;; [unrolled: 1-line block ×3, first 2 shown]
	v_readfirstlane_b32 s14, v2
	v_readfirstlane_b32 s15, v11
	v_add_co_u32_e32 v9, vcc, v2, v42
	s_mov_b32 s17, s16
	s_mov_b32 s18, s16
	;; [unrolled: 1-line block ×3, first 2 shown]
	s_nop 0
	global_store_dwordx4 v42, v[3:6], s[14:15]
	v_mov_b32_e32 v2, s16
	v_addc_co_u32_e32 v10, vcc, 0, v11, vcc
	v_mov_b32_e32 v3, s17
	v_mov_b32_e32 v4, s18
	;; [unrolled: 1-line block ×3, first 2 shown]
	global_store_dwordx4 v42, v[2:5], s[14:15] offset:16
	global_store_dwordx4 v42, v[2:5], s[14:15] offset:32
	;; [unrolled: 1-line block ×3, first 2 shown]
	s_and_saveexec_b64 s[14:15], s[6:7]
	s_cbranch_execz .LBB8_447
; %bb.440:
	v_mov_b32_e32 v6, 0
	global_load_dwordx2 v[13:14], v6, s[50:51] offset:32 glc
	global_load_dwordx2 v[2:3], v6, s[50:51] offset:40
	v_mov_b32_e32 v11, s12
	v_mov_b32_e32 v12, s13
	s_waitcnt vmcnt(0)
	v_readfirstlane_b32 s16, v2
	v_readfirstlane_b32 s17, v3
	s_and_b64 s[16:17], s[16:17], s[12:13]
	s_mul_i32 s11, s17, 24
	s_mul_hi_u32 s17, s16, 24
	s_mul_i32 s16, s16, 24
	s_add_i32 s11, s17, s11
	v_mov_b32_e32 v2, s11
	v_add_co_u32_e32 v4, vcc, s16, v0
	v_addc_co_u32_e32 v5, vcc, v1, v2, vcc
	global_store_dwordx2 v[4:5], v[13:14], off
	s_waitcnt vmcnt(0)
	global_atomic_cmpswap_x2 v[2:3], v6, v[11:14], s[50:51] offset:32 glc
	s_waitcnt vmcnt(0)
	v_cmp_ne_u64_e32 vcc, v[2:3], v[13:14]
	s_and_saveexec_b64 s[16:17], vcc
	s_cbranch_execz .LBB8_443
; %bb.441:
	s_mov_b64 s[18:19], 0
.LBB8_442:                              ; =>This Inner Loop Header: Depth=1
	s_sleep 1
	global_store_dwordx2 v[4:5], v[2:3], off
	v_mov_b32_e32 v0, s12
	v_mov_b32_e32 v1, s13
	s_waitcnt vmcnt(0)
	global_atomic_cmpswap_x2 v[0:1], v6, v[0:3], s[50:51] offset:32 glc
	s_waitcnt vmcnt(0)
	v_cmp_eq_u64_e32 vcc, v[0:1], v[2:3]
	v_mov_b32_e32 v3, v1
	s_or_b64 s[18:19], vcc, s[18:19]
	v_mov_b32_e32 v2, v0
	s_andn2_b64 exec, exec, s[18:19]
	s_cbranch_execnz .LBB8_442
.LBB8_443:
	s_or_b64 exec, exec, s[16:17]
	v_mov_b32_e32 v3, 0
	global_load_dwordx2 v[0:1], v3, s[50:51] offset:16
	s_mov_b64 s[16:17], exec
	v_mbcnt_lo_u32_b32 v2, s16, 0
	v_mbcnt_hi_u32_b32 v2, s17, v2
	v_cmp_eq_u32_e32 vcc, 0, v2
	s_and_saveexec_b64 s[18:19], vcc
	s_cbranch_execz .LBB8_445
; %bb.444:
	s_bcnt1_i32_b64 s11, s[16:17]
	v_mov_b32_e32 v2, s11
	s_waitcnt vmcnt(0)
	global_atomic_add_x2 v[0:1], v[2:3], off offset:8
.LBB8_445:
	s_or_b64 exec, exec, s[18:19]
	s_waitcnt vmcnt(0)
	global_load_dwordx2 v[2:3], v[0:1], off offset:16
	s_waitcnt vmcnt(0)
	v_cmp_eq_u64_e32 vcc, 0, v[2:3]
	s_cbranch_vccnz .LBB8_447
; %bb.446:
	global_load_dword v0, v[0:1], off offset:24
	v_mov_b32_e32 v1, 0
	s_waitcnt vmcnt(0)
	global_store_dwordx2 v[2:3], v[0:1], off
	v_and_b32_e32 v0, 0xffffff, v0
	v_readfirstlane_b32 m0, v0
	s_sendmsg sendmsg(MSG_INTERRUPT)
.LBB8_447:
	s_or_b64 exec, exec, s[14:15]
	s_branch .LBB8_451
.LBB8_448:                              ;   in Loop: Header=BB8_451 Depth=1
	s_or_b64 exec, exec, s[14:15]
	v_readfirstlane_b32 s11, v0
	s_cmp_eq_u32 s11, 0
	s_cbranch_scc1 .LBB8_450
; %bb.449:                              ;   in Loop: Header=BB8_451 Depth=1
	s_sleep 1
	s_cbranch_execnz .LBB8_451
	s_branch .LBB8_453
.LBB8_450:
	s_branch .LBB8_453
.LBB8_451:                              ; =>This Inner Loop Header: Depth=1
	v_mov_b32_e32 v0, 1
	s_and_saveexec_b64 s[14:15], s[6:7]
	s_cbranch_execz .LBB8_448
; %bb.452:                              ;   in Loop: Header=BB8_451 Depth=1
	global_load_dword v0, v[7:8], off offset:20 glc
	s_waitcnt vmcnt(0)
	buffer_wbinvl1_vol
	v_and_b32_e32 v0, 1, v0
	s_branch .LBB8_448
.LBB8_453:
	global_load_dwordx2 v[4:5], v[9:10], off
	s_and_saveexec_b64 s[14:15], s[6:7]
	s_cbranch_execz .LBB8_456
; %bb.454:
	v_mov_b32_e32 v8, 0
	global_load_dwordx2 v[2:3], v8, s[50:51] offset:40
	global_load_dwordx2 v[9:10], v8, s[50:51] offset:24 glc
	global_load_dwordx2 v[6:7], v8, s[50:51]
	v_mov_b32_e32 v1, s13
	s_mov_b64 s[6:7], 0
	s_waitcnt vmcnt(2)
	v_add_co_u32_e32 v11, vcc, 1, v2
	v_addc_co_u32_e32 v12, vcc, 0, v3, vcc
	v_add_co_u32_e32 v0, vcc, s12, v11
	v_addc_co_u32_e32 v1, vcc, v12, v1, vcc
	v_cmp_eq_u64_e32 vcc, 0, v[0:1]
	v_cndmask_b32_e32 v1, v1, v12, vcc
	v_cndmask_b32_e32 v0, v0, v11, vcc
	v_and_b32_e32 v3, v1, v3
	v_and_b32_e32 v2, v0, v2
	v_mul_lo_u32 v3, v3, 24
	v_mul_hi_u32 v11, v2, 24
	v_mul_lo_u32 v12, v2, 24
	s_waitcnt vmcnt(1)
	v_mov_b32_e32 v2, v9
	v_add_u32_e32 v3, v11, v3
	s_waitcnt vmcnt(0)
	v_add_co_u32_e32 v6, vcc, v6, v12
	v_addc_co_u32_e32 v7, vcc, v7, v3, vcc
	global_store_dwordx2 v[6:7], v[9:10], off
	v_mov_b32_e32 v3, v10
	s_waitcnt vmcnt(0)
	global_atomic_cmpswap_x2 v[2:3], v8, v[0:3], s[50:51] offset:24 glc
	s_waitcnt vmcnt(0)
	v_cmp_ne_u64_e32 vcc, v[2:3], v[9:10]
	s_and_b64 exec, exec, vcc
	s_cbranch_execz .LBB8_456
.LBB8_455:                              ; =>This Inner Loop Header: Depth=1
	s_sleep 1
	global_store_dwordx2 v[6:7], v[2:3], off
	s_waitcnt vmcnt(0)
	global_atomic_cmpswap_x2 v[9:10], v8, v[0:3], s[50:51] offset:24 glc
	s_waitcnt vmcnt(0)
	v_cmp_eq_u64_e32 vcc, v[9:10], v[2:3]
	v_mov_b32_e32 v2, v9
	s_or_b64 s[6:7], vcc, s[6:7]
	v_mov_b32_e32 v3, v10
	s_andn2_b64 exec, exec, s[6:7]
	s_cbranch_execnz .LBB8_455
.LBB8_456:
	s_or_b64 exec, exec, s[14:15]
	s_and_b64 vcc, exec, s[8:9]
	s_cbranch_vccz .LBB8_541
; %bb.457:
	s_waitcnt vmcnt(0)
	v_and_b32_e32 v29, 2, v4
	v_mov_b32_e32 v26, 0
	v_and_b32_e32 v0, -3, v4
	v_mov_b32_e32 v1, v5
	s_mov_b64 s[14:15], 3
	v_mov_b32_e32 v8, 2
	v_mov_b32_e32 v9, 1
	s_getpc_b64 s[12:13]
	s_add_u32 s12, s12, .str.5@rel32@lo+4
	s_addc_u32 s13, s13, .str.5@rel32@hi+12
	s_branch .LBB8_459
.LBB8_458:                              ;   in Loop: Header=BB8_459 Depth=1
	s_or_b64 exec, exec, s[20:21]
	s_sub_u32 s14, s14, s16
	s_subb_u32 s15, s15, s17
	s_add_u32 s12, s12, s16
	s_addc_u32 s13, s13, s17
	s_cmp_lg_u64 s[14:15], 0
	s_cbranch_scc0 .LBB8_540
.LBB8_459:                              ; =>This Loop Header: Depth=1
                                        ;     Child Loop BB8_462 Depth 2
                                        ;     Child Loop BB8_469 Depth 2
	;; [unrolled: 1-line block ×11, first 2 shown]
	v_cmp_lt_u64_e64 s[6:7], s[14:15], 56
	v_cmp_gt_u64_e64 s[18:19], s[14:15], 7
	s_and_b64 s[6:7], s[6:7], exec
	s_cselect_b32 s17, s15, 0
	s_cselect_b32 s16, s14, 56
	s_and_b64 vcc, exec, s[18:19]
	s_cbranch_vccnz .LBB8_464
; %bb.460:                              ;   in Loop: Header=BB8_459 Depth=1
	s_waitcnt vmcnt(0)
	v_mov_b32_e32 v2, 0
	s_cmp_eq_u64 s[14:15], 0
	v_mov_b32_e32 v3, 0
	s_mov_b64 s[6:7], 0
	s_cbranch_scc1 .LBB8_463
; %bb.461:                              ;   in Loop: Header=BB8_459 Depth=1
	v_mov_b32_e32 v2, 0
	s_lshl_b64 s[18:19], s[16:17], 3
	s_mov_b64 s[20:21], 0
	v_mov_b32_e32 v3, 0
	s_mov_b64 s[22:23], s[12:13]
.LBB8_462:                              ;   Parent Loop BB8_459 Depth=1
                                        ; =>  This Inner Loop Header: Depth=2
	global_load_ubyte v6, v26, s[22:23]
	s_waitcnt vmcnt(0)
	v_and_b32_e32 v25, 0xffff, v6
	v_lshlrev_b64 v[6:7], s20, v[25:26]
	s_add_u32 s20, s20, 8
	s_addc_u32 s21, s21, 0
	s_add_u32 s22, s22, 1
	s_addc_u32 s23, s23, 0
	v_or_b32_e32 v2, v6, v2
	s_cmp_lg_u32 s18, s20
	v_or_b32_e32 v3, v7, v3
	s_cbranch_scc1 .LBB8_462
.LBB8_463:                              ;   in Loop: Header=BB8_459 Depth=1
	s_mov_b32 s11, 0
	s_andn2_b64 vcc, exec, s[6:7]
	s_mov_b64 s[6:7], s[12:13]
	s_cbranch_vccz .LBB8_465
	s_branch .LBB8_466
.LBB8_464:                              ;   in Loop: Header=BB8_459 Depth=1
                                        ; implicit-def: $vgpr2_vgpr3
                                        ; implicit-def: $sgpr11
	s_mov_b64 s[6:7], s[12:13]
.LBB8_465:                              ;   in Loop: Header=BB8_459 Depth=1
	global_load_dwordx2 v[2:3], v26, s[12:13]
	s_add_i32 s11, s16, -8
	s_add_u32 s6, s12, 8
	s_addc_u32 s7, s13, 0
.LBB8_466:                              ;   in Loop: Header=BB8_459 Depth=1
	s_cmp_gt_u32 s11, 7
	s_cbranch_scc1 .LBB8_470
; %bb.467:                              ;   in Loop: Header=BB8_459 Depth=1
	s_cmp_eq_u32 s11, 0
	s_cbranch_scc1 .LBB8_471
; %bb.468:                              ;   in Loop: Header=BB8_459 Depth=1
	v_mov_b32_e32 v10, 0
	s_mov_b64 s[18:19], 0
	v_mov_b32_e32 v11, 0
	s_mov_b64 s[20:21], 0
.LBB8_469:                              ;   Parent Loop BB8_459 Depth=1
                                        ; =>  This Inner Loop Header: Depth=2
	s_add_u32 s22, s6, s20
	s_addc_u32 s23, s7, s21
	global_load_ubyte v6, v26, s[22:23]
	s_add_u32 s20, s20, 1
	s_addc_u32 s21, s21, 0
	s_waitcnt vmcnt(0)
	v_and_b32_e32 v25, 0xffff, v6
	v_lshlrev_b64 v[6:7], s18, v[25:26]
	s_add_u32 s18, s18, 8
	s_addc_u32 s19, s19, 0
	v_or_b32_e32 v10, v6, v10
	s_cmp_lg_u32 s11, s20
	v_or_b32_e32 v11, v7, v11
	s_cbranch_scc1 .LBB8_469
	s_branch .LBB8_472
.LBB8_470:                              ;   in Loop: Header=BB8_459 Depth=1
                                        ; implicit-def: $vgpr10_vgpr11
                                        ; implicit-def: $sgpr22
	s_branch .LBB8_473
.LBB8_471:                              ;   in Loop: Header=BB8_459 Depth=1
	v_mov_b32_e32 v10, 0
	v_mov_b32_e32 v11, 0
.LBB8_472:                              ;   in Loop: Header=BB8_459 Depth=1
	s_mov_b32 s22, 0
	s_cbranch_execnz .LBB8_474
.LBB8_473:                              ;   in Loop: Header=BB8_459 Depth=1
	global_load_dwordx2 v[10:11], v26, s[6:7]
	s_add_i32 s22, s11, -8
	s_add_u32 s6, s6, 8
	s_addc_u32 s7, s7, 0
.LBB8_474:                              ;   in Loop: Header=BB8_459 Depth=1
	s_cmp_gt_u32 s22, 7
	s_cbranch_scc1 .LBB8_478
; %bb.475:                              ;   in Loop: Header=BB8_459 Depth=1
	s_cmp_eq_u32 s22, 0
	s_cbranch_scc1 .LBB8_479
; %bb.476:                              ;   in Loop: Header=BB8_459 Depth=1
	v_mov_b32_e32 v12, 0
	s_mov_b64 s[18:19], 0
	v_mov_b32_e32 v13, 0
	s_mov_b64 s[20:21], 0
.LBB8_477:                              ;   Parent Loop BB8_459 Depth=1
                                        ; =>  This Inner Loop Header: Depth=2
	s_add_u32 s24, s6, s20
	s_addc_u32 s25, s7, s21
	global_load_ubyte v6, v26, s[24:25]
	s_add_u32 s20, s20, 1
	s_addc_u32 s21, s21, 0
	s_waitcnt vmcnt(0)
	v_and_b32_e32 v25, 0xffff, v6
	v_lshlrev_b64 v[6:7], s18, v[25:26]
	s_add_u32 s18, s18, 8
	s_addc_u32 s19, s19, 0
	v_or_b32_e32 v12, v6, v12
	s_cmp_lg_u32 s22, s20
	v_or_b32_e32 v13, v7, v13
	s_cbranch_scc1 .LBB8_477
	s_branch .LBB8_480
.LBB8_478:                              ;   in Loop: Header=BB8_459 Depth=1
                                        ; implicit-def: $sgpr11
	s_branch .LBB8_481
.LBB8_479:                              ;   in Loop: Header=BB8_459 Depth=1
	v_mov_b32_e32 v12, 0
	v_mov_b32_e32 v13, 0
.LBB8_480:                              ;   in Loop: Header=BB8_459 Depth=1
	s_mov_b32 s11, 0
	s_cbranch_execnz .LBB8_482
.LBB8_481:                              ;   in Loop: Header=BB8_459 Depth=1
	global_load_dwordx2 v[12:13], v26, s[6:7]
	s_add_i32 s11, s22, -8
	s_add_u32 s6, s6, 8
	s_addc_u32 s7, s7, 0
.LBB8_482:                              ;   in Loop: Header=BB8_459 Depth=1
	s_cmp_gt_u32 s11, 7
	s_cbranch_scc1 .LBB8_486
; %bb.483:                              ;   in Loop: Header=BB8_459 Depth=1
	s_cmp_eq_u32 s11, 0
	s_cbranch_scc1 .LBB8_487
; %bb.484:                              ;   in Loop: Header=BB8_459 Depth=1
	v_mov_b32_e32 v14, 0
	s_mov_b64 s[18:19], 0
	v_mov_b32_e32 v15, 0
	s_mov_b64 s[20:21], 0
.LBB8_485:                              ;   Parent Loop BB8_459 Depth=1
                                        ; =>  This Inner Loop Header: Depth=2
	s_add_u32 s22, s6, s20
	s_addc_u32 s23, s7, s21
	global_load_ubyte v6, v26, s[22:23]
	s_add_u32 s20, s20, 1
	s_addc_u32 s21, s21, 0
	s_waitcnt vmcnt(0)
	v_and_b32_e32 v25, 0xffff, v6
	v_lshlrev_b64 v[6:7], s18, v[25:26]
	s_add_u32 s18, s18, 8
	s_addc_u32 s19, s19, 0
	v_or_b32_e32 v14, v6, v14
	s_cmp_lg_u32 s11, s20
	v_or_b32_e32 v15, v7, v15
	s_cbranch_scc1 .LBB8_485
	s_branch .LBB8_488
.LBB8_486:                              ;   in Loop: Header=BB8_459 Depth=1
                                        ; implicit-def: $vgpr14_vgpr15
                                        ; implicit-def: $sgpr22
	s_branch .LBB8_489
.LBB8_487:                              ;   in Loop: Header=BB8_459 Depth=1
	v_mov_b32_e32 v14, 0
	v_mov_b32_e32 v15, 0
.LBB8_488:                              ;   in Loop: Header=BB8_459 Depth=1
	s_mov_b32 s22, 0
	s_cbranch_execnz .LBB8_490
.LBB8_489:                              ;   in Loop: Header=BB8_459 Depth=1
	global_load_dwordx2 v[14:15], v26, s[6:7]
	s_add_i32 s22, s11, -8
	s_add_u32 s6, s6, 8
	s_addc_u32 s7, s7, 0
.LBB8_490:                              ;   in Loop: Header=BB8_459 Depth=1
	s_cmp_gt_u32 s22, 7
	s_cbranch_scc1 .LBB8_494
; %bb.491:                              ;   in Loop: Header=BB8_459 Depth=1
	s_cmp_eq_u32 s22, 0
	s_cbranch_scc1 .LBB8_495
; %bb.492:                              ;   in Loop: Header=BB8_459 Depth=1
	v_mov_b32_e32 v16, 0
	s_mov_b64 s[18:19], 0
	v_mov_b32_e32 v17, 0
	s_mov_b64 s[20:21], 0
.LBB8_493:                              ;   Parent Loop BB8_459 Depth=1
                                        ; =>  This Inner Loop Header: Depth=2
	s_add_u32 s24, s6, s20
	s_addc_u32 s25, s7, s21
	global_load_ubyte v6, v26, s[24:25]
	s_add_u32 s20, s20, 1
	s_addc_u32 s21, s21, 0
	s_waitcnt vmcnt(0)
	v_and_b32_e32 v25, 0xffff, v6
	v_lshlrev_b64 v[6:7], s18, v[25:26]
	s_add_u32 s18, s18, 8
	s_addc_u32 s19, s19, 0
	v_or_b32_e32 v16, v6, v16
	s_cmp_lg_u32 s22, s20
	v_or_b32_e32 v17, v7, v17
	s_cbranch_scc1 .LBB8_493
	s_branch .LBB8_496
.LBB8_494:                              ;   in Loop: Header=BB8_459 Depth=1
                                        ; implicit-def: $sgpr11
	s_branch .LBB8_497
.LBB8_495:                              ;   in Loop: Header=BB8_459 Depth=1
	v_mov_b32_e32 v16, 0
	v_mov_b32_e32 v17, 0
.LBB8_496:                              ;   in Loop: Header=BB8_459 Depth=1
	s_mov_b32 s11, 0
	s_cbranch_execnz .LBB8_498
.LBB8_497:                              ;   in Loop: Header=BB8_459 Depth=1
	global_load_dwordx2 v[16:17], v26, s[6:7]
	s_add_i32 s11, s22, -8
	s_add_u32 s6, s6, 8
	s_addc_u32 s7, s7, 0
.LBB8_498:                              ;   in Loop: Header=BB8_459 Depth=1
	s_cmp_gt_u32 s11, 7
	s_cbranch_scc1 .LBB8_502
; %bb.499:                              ;   in Loop: Header=BB8_459 Depth=1
	s_cmp_eq_u32 s11, 0
	s_cbranch_scc1 .LBB8_503
; %bb.500:                              ;   in Loop: Header=BB8_459 Depth=1
	v_mov_b32_e32 v18, 0
	s_mov_b64 s[18:19], 0
	v_mov_b32_e32 v19, 0
	s_mov_b64 s[20:21], 0
.LBB8_501:                              ;   Parent Loop BB8_459 Depth=1
                                        ; =>  This Inner Loop Header: Depth=2
	s_add_u32 s22, s6, s20
	s_addc_u32 s23, s7, s21
	global_load_ubyte v6, v26, s[22:23]
	s_add_u32 s20, s20, 1
	s_addc_u32 s21, s21, 0
	s_waitcnt vmcnt(0)
	v_and_b32_e32 v25, 0xffff, v6
	v_lshlrev_b64 v[6:7], s18, v[25:26]
	s_add_u32 s18, s18, 8
	s_addc_u32 s19, s19, 0
	v_or_b32_e32 v18, v6, v18
	s_cmp_lg_u32 s11, s20
	v_or_b32_e32 v19, v7, v19
	s_cbranch_scc1 .LBB8_501
	s_branch .LBB8_504
.LBB8_502:                              ;   in Loop: Header=BB8_459 Depth=1
                                        ; implicit-def: $vgpr18_vgpr19
                                        ; implicit-def: $sgpr22
	s_branch .LBB8_505
.LBB8_503:                              ;   in Loop: Header=BB8_459 Depth=1
	v_mov_b32_e32 v18, 0
	v_mov_b32_e32 v19, 0
.LBB8_504:                              ;   in Loop: Header=BB8_459 Depth=1
	s_mov_b32 s22, 0
	s_cbranch_execnz .LBB8_506
.LBB8_505:                              ;   in Loop: Header=BB8_459 Depth=1
	global_load_dwordx2 v[18:19], v26, s[6:7]
	s_add_i32 s22, s11, -8
	s_add_u32 s6, s6, 8
	s_addc_u32 s7, s7, 0
.LBB8_506:                              ;   in Loop: Header=BB8_459 Depth=1
	s_cmp_gt_u32 s22, 7
	s_cbranch_scc1 .LBB8_510
; %bb.507:                              ;   in Loop: Header=BB8_459 Depth=1
	s_cmp_eq_u32 s22, 0
	s_cbranch_scc1 .LBB8_511
; %bb.508:                              ;   in Loop: Header=BB8_459 Depth=1
	v_mov_b32_e32 v20, 0
	s_mov_b64 s[18:19], 0
	v_mov_b32_e32 v21, 0
	s_mov_b64 s[20:21], s[6:7]
.LBB8_509:                              ;   Parent Loop BB8_459 Depth=1
                                        ; =>  This Inner Loop Header: Depth=2
	global_load_ubyte v6, v26, s[20:21]
	s_add_i32 s22, s22, -1
	s_waitcnt vmcnt(0)
	v_and_b32_e32 v25, 0xffff, v6
	v_lshlrev_b64 v[6:7], s18, v[25:26]
	s_add_u32 s18, s18, 8
	s_addc_u32 s19, s19, 0
	s_add_u32 s20, s20, 1
	s_addc_u32 s21, s21, 0
	v_or_b32_e32 v20, v6, v20
	s_cmp_lg_u32 s22, 0
	v_or_b32_e32 v21, v7, v21
	s_cbranch_scc1 .LBB8_509
	s_branch .LBB8_512
.LBB8_510:                              ;   in Loop: Header=BB8_459 Depth=1
	s_branch .LBB8_513
.LBB8_511:                              ;   in Loop: Header=BB8_459 Depth=1
	v_mov_b32_e32 v20, 0
	v_mov_b32_e32 v21, 0
.LBB8_512:                              ;   in Loop: Header=BB8_459 Depth=1
	s_cbranch_execnz .LBB8_514
.LBB8_513:                              ;   in Loop: Header=BB8_459 Depth=1
	global_load_dwordx2 v[20:21], v26, s[6:7]
.LBB8_514:                              ;   in Loop: Header=BB8_459 Depth=1
	v_readfirstlane_b32 s6, v43
	v_mov_b32_e32 v6, 0
	v_mov_b32_e32 v7, 0
	v_cmp_eq_u32_e64 s[6:7], s6, v43
	s_and_saveexec_b64 s[18:19], s[6:7]
	s_cbranch_execz .LBB8_520
; %bb.515:                              ;   in Loop: Header=BB8_459 Depth=1
	global_load_dwordx2 v[24:25], v26, s[50:51] offset:24 glc
	s_waitcnt vmcnt(0)
	buffer_wbinvl1_vol
	global_load_dwordx2 v[6:7], v26, s[50:51] offset:40
	global_load_dwordx2 v[22:23], v26, s[50:51]
	s_waitcnt vmcnt(1)
	v_and_b32_e32 v6, v6, v24
	v_and_b32_e32 v7, v7, v25
	v_mul_lo_u32 v7, v7, 24
	v_mul_hi_u32 v27, v6, 24
	v_mul_lo_u32 v6, v6, 24
	v_add_u32_e32 v7, v27, v7
	s_waitcnt vmcnt(0)
	v_add_co_u32_e32 v6, vcc, v22, v6
	v_addc_co_u32_e32 v7, vcc, v23, v7, vcc
	global_load_dwordx2 v[22:23], v[6:7], off glc
	s_waitcnt vmcnt(0)
	global_atomic_cmpswap_x2 v[6:7], v26, v[22:25], s[50:51] offset:24 glc
	s_waitcnt vmcnt(0)
	buffer_wbinvl1_vol
	v_cmp_ne_u64_e32 vcc, v[6:7], v[24:25]
	s_and_saveexec_b64 s[20:21], vcc
	s_cbranch_execz .LBB8_519
; %bb.516:                              ;   in Loop: Header=BB8_459 Depth=1
	s_mov_b64 s[22:23], 0
.LBB8_517:                              ;   Parent Loop BB8_459 Depth=1
                                        ; =>  This Inner Loop Header: Depth=2
	s_sleep 1
	global_load_dwordx2 v[22:23], v26, s[50:51] offset:40
	global_load_dwordx2 v[27:28], v26, s[50:51]
	v_mov_b32_e32 v25, v7
	v_mov_b32_e32 v24, v6
	s_waitcnt vmcnt(1)
	v_and_b32_e32 v6, v22, v24
	s_waitcnt vmcnt(0)
	v_mad_u64_u32 v[6:7], s[24:25], v6, 24, v[27:28]
	v_and_b32_e32 v22, v23, v25
	v_mad_u64_u32 v[22:23], s[24:25], v22, 24, v[7:8]
	v_mov_b32_e32 v7, v22
	global_load_dwordx2 v[22:23], v[6:7], off glc
	s_waitcnt vmcnt(0)
	global_atomic_cmpswap_x2 v[6:7], v26, v[22:25], s[50:51] offset:24 glc
	s_waitcnt vmcnt(0)
	buffer_wbinvl1_vol
	v_cmp_eq_u64_e32 vcc, v[6:7], v[24:25]
	s_or_b64 s[22:23], vcc, s[22:23]
	s_andn2_b64 exec, exec, s[22:23]
	s_cbranch_execnz .LBB8_517
; %bb.518:                              ;   in Loop: Header=BB8_459 Depth=1
	s_or_b64 exec, exec, s[22:23]
.LBB8_519:                              ;   in Loop: Header=BB8_459 Depth=1
	s_or_b64 exec, exec, s[20:21]
.LBB8_520:                              ;   in Loop: Header=BB8_459 Depth=1
	s_or_b64 exec, exec, s[18:19]
	global_load_dwordx2 v[27:28], v26, s[50:51] offset:40
	global_load_dwordx4 v[22:25], v26, s[50:51]
	v_readfirstlane_b32 s18, v6
	v_readfirstlane_b32 s19, v7
	s_mov_b64 s[22:23], exec
	s_waitcnt vmcnt(1)
	v_readfirstlane_b32 s20, v27
	v_readfirstlane_b32 s21, v28
	s_and_b64 s[20:21], s[18:19], s[20:21]
	s_mul_i32 s11, s21, 24
	s_mul_hi_u32 s24, s20, 24
	s_mul_i32 s25, s20, 24
	s_add_i32 s11, s24, s11
	v_mov_b32_e32 v6, s11
	s_waitcnt vmcnt(0)
	v_add_co_u32_e32 v27, vcc, s25, v22
	v_addc_co_u32_e32 v28, vcc, v23, v6, vcc
	s_and_saveexec_b64 s[24:25], s[6:7]
	s_cbranch_execz .LBB8_522
; %bb.521:                              ;   in Loop: Header=BB8_459 Depth=1
	v_mov_b32_e32 v6, s22
	v_mov_b32_e32 v7, s23
	global_store_dwordx4 v[27:28], v[6:9], off offset:8
.LBB8_522:                              ;   in Loop: Header=BB8_459 Depth=1
	s_or_b64 exec, exec, s[24:25]
	v_cmp_gt_u64_e64 vcc, s[14:15], 56
	v_or_b32_e32 v6, 0, v1
	v_cndmask_b32_e32 v1, v6, v1, vcc
	v_or_b32_e32 v6, v0, v29
	s_lshl_b32 s11, s16, 2
	s_lshl_b64 s[20:21], s[20:21], 12
	v_cndmask_b32_e32 v0, v6, v0, vcc
	s_add_i32 s11, s11, 28
	v_mov_b32_e32 v6, s21
	v_add_co_u32_e32 v24, vcc, s20, v24
	s_and_b32 s11, s11, 0x1e0
	v_and_b32_e32 v0, 0xffffff1f, v0
	v_addc_co_u32_e32 v30, vcc, v25, v6, vcc
	v_or_b32_e32 v0, s11, v0
	v_readfirstlane_b32 s20, v24
	v_readfirstlane_b32 s21, v30
	s_nop 4
	global_store_dwordx4 v42, v[0:3], s[20:21]
	global_store_dwordx4 v42, v[10:13], s[20:21] offset:16
	global_store_dwordx4 v42, v[14:17], s[20:21] offset:32
	;; [unrolled: 1-line block ×3, first 2 shown]
	s_and_saveexec_b64 s[20:21], s[6:7]
	s_cbranch_execz .LBB8_530
; %bb.523:                              ;   in Loop: Header=BB8_459 Depth=1
	global_load_dwordx2 v[12:13], v26, s[50:51] offset:32 glc
	global_load_dwordx2 v[0:1], v26, s[50:51] offset:40
	v_mov_b32_e32 v10, s18
	v_mov_b32_e32 v11, s19
	s_waitcnt vmcnt(0)
	v_readfirstlane_b32 s22, v0
	v_readfirstlane_b32 s23, v1
	s_and_b64 s[22:23], s[22:23], s[18:19]
	s_mul_i32 s11, s23, 24
	s_mul_hi_u32 s23, s22, 24
	s_mul_i32 s22, s22, 24
	s_add_i32 s11, s23, s11
	v_mov_b32_e32 v0, s11
	v_add_co_u32_e32 v6, vcc, s22, v22
	v_addc_co_u32_e32 v7, vcc, v23, v0, vcc
	global_store_dwordx2 v[6:7], v[12:13], off
	s_waitcnt vmcnt(0)
	global_atomic_cmpswap_x2 v[2:3], v26, v[10:13], s[50:51] offset:32 glc
	s_waitcnt vmcnt(0)
	v_cmp_ne_u64_e32 vcc, v[2:3], v[12:13]
	s_and_saveexec_b64 s[22:23], vcc
	s_cbranch_execz .LBB8_526
; %bb.524:                              ;   in Loop: Header=BB8_459 Depth=1
	s_mov_b64 s[24:25], 0
.LBB8_525:                              ;   Parent Loop BB8_459 Depth=1
                                        ; =>  This Inner Loop Header: Depth=2
	s_sleep 1
	global_store_dwordx2 v[6:7], v[2:3], off
	v_mov_b32_e32 v0, s18
	v_mov_b32_e32 v1, s19
	s_waitcnt vmcnt(0)
	global_atomic_cmpswap_x2 v[0:1], v26, v[0:3], s[50:51] offset:32 glc
	s_waitcnt vmcnt(0)
	v_cmp_eq_u64_e32 vcc, v[0:1], v[2:3]
	v_mov_b32_e32 v3, v1
	s_or_b64 s[24:25], vcc, s[24:25]
	v_mov_b32_e32 v2, v0
	s_andn2_b64 exec, exec, s[24:25]
	s_cbranch_execnz .LBB8_525
.LBB8_526:                              ;   in Loop: Header=BB8_459 Depth=1
	s_or_b64 exec, exec, s[22:23]
	global_load_dwordx2 v[0:1], v26, s[50:51] offset:16
	s_mov_b64 s[24:25], exec
	v_mbcnt_lo_u32_b32 v2, s24, 0
	v_mbcnt_hi_u32_b32 v2, s25, v2
	v_cmp_eq_u32_e32 vcc, 0, v2
	s_and_saveexec_b64 s[22:23], vcc
	s_cbranch_execz .LBB8_528
; %bb.527:                              ;   in Loop: Header=BB8_459 Depth=1
	s_bcnt1_i32_b64 s11, s[24:25]
	v_mov_b32_e32 v25, s11
	s_waitcnt vmcnt(0)
	global_atomic_add_x2 v[0:1], v[25:26], off offset:8
.LBB8_528:                              ;   in Loop: Header=BB8_459 Depth=1
	s_or_b64 exec, exec, s[22:23]
	s_waitcnt vmcnt(0)
	global_load_dwordx2 v[2:3], v[0:1], off offset:16
	s_waitcnt vmcnt(0)
	v_cmp_eq_u64_e32 vcc, 0, v[2:3]
	s_cbranch_vccnz .LBB8_530
; %bb.529:                              ;   in Loop: Header=BB8_459 Depth=1
	global_load_dword v25, v[0:1], off offset:24
	s_waitcnt vmcnt(0)
	v_and_b32_e32 v0, 0xffffff, v25
	v_readfirstlane_b32 m0, v0
	global_store_dwordx2 v[2:3], v[25:26], off
	s_sendmsg sendmsg(MSG_INTERRUPT)
.LBB8_530:                              ;   in Loop: Header=BB8_459 Depth=1
	s_or_b64 exec, exec, s[20:21]
	v_add_co_u32_e32 v0, vcc, v24, v42
	v_addc_co_u32_e32 v1, vcc, 0, v30, vcc
	s_branch .LBB8_534
.LBB8_531:                              ;   in Loop: Header=BB8_534 Depth=2
	s_or_b64 exec, exec, s[20:21]
	v_readfirstlane_b32 s11, v2
	s_cmp_eq_u32 s11, 0
	s_cbranch_scc1 .LBB8_533
; %bb.532:                              ;   in Loop: Header=BB8_534 Depth=2
	s_sleep 1
	s_cbranch_execnz .LBB8_534
	s_branch .LBB8_536
.LBB8_533:                              ;   in Loop: Header=BB8_459 Depth=1
	s_branch .LBB8_536
.LBB8_534:                              ;   Parent Loop BB8_459 Depth=1
                                        ; =>  This Inner Loop Header: Depth=2
	v_mov_b32_e32 v2, 1
	s_and_saveexec_b64 s[20:21], s[6:7]
	s_cbranch_execz .LBB8_531
; %bb.535:                              ;   in Loop: Header=BB8_534 Depth=2
	global_load_dword v2, v[27:28], off offset:20 glc
	s_waitcnt vmcnt(0)
	buffer_wbinvl1_vol
	v_and_b32_e32 v2, 1, v2
	s_branch .LBB8_531
.LBB8_536:                              ;   in Loop: Header=BB8_459 Depth=1
	global_load_dwordx4 v[0:3], v[0:1], off
	s_and_saveexec_b64 s[20:21], s[6:7]
	s_cbranch_execz .LBB8_458
; %bb.537:                              ;   in Loop: Header=BB8_459 Depth=1
	global_load_dwordx2 v[2:3], v26, s[50:51] offset:40
	global_load_dwordx2 v[6:7], v26, s[50:51] offset:24 glc
	global_load_dwordx2 v[13:14], v26, s[50:51]
	v_mov_b32_e32 v11, s19
	s_waitcnt vmcnt(2)
	v_add_co_u32_e32 v12, vcc, 1, v2
	v_addc_co_u32_e32 v15, vcc, 0, v3, vcc
	v_add_co_u32_e32 v10, vcc, s18, v12
	v_addc_co_u32_e32 v11, vcc, v15, v11, vcc
	v_cmp_eq_u64_e32 vcc, 0, v[10:11]
	v_cndmask_b32_e32 v11, v11, v15, vcc
	v_cndmask_b32_e32 v10, v10, v12, vcc
	v_and_b32_e32 v3, v11, v3
	v_and_b32_e32 v2, v10, v2
	v_mul_lo_u32 v3, v3, 24
	v_mul_hi_u32 v15, v2, 24
	v_mul_lo_u32 v2, v2, 24
	s_waitcnt vmcnt(1)
	v_mov_b32_e32 v12, v6
	v_add_u32_e32 v3, v15, v3
	s_waitcnt vmcnt(0)
	v_add_co_u32_e32 v2, vcc, v13, v2
	v_addc_co_u32_e32 v3, vcc, v14, v3, vcc
	global_store_dwordx2 v[2:3], v[6:7], off
	v_mov_b32_e32 v13, v7
	s_waitcnt vmcnt(0)
	global_atomic_cmpswap_x2 v[12:13], v26, v[10:13], s[50:51] offset:24 glc
	s_waitcnt vmcnt(0)
	v_cmp_ne_u64_e32 vcc, v[12:13], v[6:7]
	s_and_b64 exec, exec, vcc
	s_cbranch_execz .LBB8_458
; %bb.538:                              ;   in Loop: Header=BB8_459 Depth=1
	s_mov_b64 s[6:7], 0
.LBB8_539:                              ;   Parent Loop BB8_459 Depth=1
                                        ; =>  This Inner Loop Header: Depth=2
	s_sleep 1
	global_store_dwordx2 v[2:3], v[12:13], off
	s_waitcnt vmcnt(0)
	global_atomic_cmpswap_x2 v[6:7], v26, v[10:13], s[50:51] offset:24 glc
	s_waitcnt vmcnt(0)
	v_cmp_eq_u64_e32 vcc, v[6:7], v[12:13]
	v_mov_b32_e32 v13, v7
	s_or_b64 s[6:7], vcc, s[6:7]
	v_mov_b32_e32 v12, v6
	s_andn2_b64 exec, exec, s[6:7]
	s_cbranch_execnz .LBB8_539
	s_branch .LBB8_458
.LBB8_540:
	s_mov_b64 s[6:7], 0
	s_branch .LBB8_542
.LBB8_541:
	s_mov_b64 s[6:7], -1
                                        ; implicit-def: $vgpr0_vgpr1
.LBB8_542:
	s_and_b64 vcc, exec, s[6:7]
	s_cbranch_vccz .LBB8_569
; %bb.543:
	v_readfirstlane_b32 s6, v43
	v_mov_b32_e32 v7, 0
	v_mov_b32_e32 v8, 0
	v_cmp_eq_u32_e64 s[6:7], s6, v43
	s_and_saveexec_b64 s[12:13], s[6:7]
	s_cbranch_execz .LBB8_549
; %bb.544:
	s_waitcnt vmcnt(0)
	v_mov_b32_e32 v0, 0
	global_load_dwordx2 v[9:10], v0, s[50:51] offset:24 glc
	s_waitcnt vmcnt(0)
	buffer_wbinvl1_vol
	global_load_dwordx2 v[1:2], v0, s[50:51] offset:40
	global_load_dwordx2 v[6:7], v0, s[50:51]
	s_waitcnt vmcnt(1)
	v_and_b32_e32 v1, v1, v9
	v_and_b32_e32 v2, v2, v10
	v_mul_lo_u32 v2, v2, 24
	v_mul_hi_u32 v3, v1, 24
	v_mul_lo_u32 v1, v1, 24
	v_add_u32_e32 v2, v3, v2
	s_waitcnt vmcnt(0)
	v_add_co_u32_e32 v1, vcc, v6, v1
	v_addc_co_u32_e32 v2, vcc, v7, v2, vcc
	global_load_dwordx2 v[7:8], v[1:2], off glc
	s_waitcnt vmcnt(0)
	global_atomic_cmpswap_x2 v[7:8], v0, v[7:10], s[50:51] offset:24 glc
	s_waitcnt vmcnt(0)
	buffer_wbinvl1_vol
	v_cmp_ne_u64_e32 vcc, v[7:8], v[9:10]
	s_and_saveexec_b64 s[14:15], vcc
	s_cbranch_execz .LBB8_548
; %bb.545:
	s_mov_b64 s[16:17], 0
.LBB8_546:                              ; =>This Inner Loop Header: Depth=1
	s_sleep 1
	global_load_dwordx2 v[1:2], v0, s[50:51] offset:40
	global_load_dwordx2 v[11:12], v0, s[50:51]
	v_mov_b32_e32 v10, v8
	v_mov_b32_e32 v9, v7
	s_waitcnt vmcnt(1)
	v_and_b32_e32 v1, v1, v9
	s_waitcnt vmcnt(0)
	v_mad_u64_u32 v[6:7], s[18:19], v1, 24, v[11:12]
	v_and_b32_e32 v2, v2, v10
	v_mov_b32_e32 v1, v7
	v_mad_u64_u32 v[1:2], s[18:19], v2, 24, v[1:2]
	v_mov_b32_e32 v7, v1
	global_load_dwordx2 v[7:8], v[6:7], off glc
	s_waitcnt vmcnt(0)
	global_atomic_cmpswap_x2 v[7:8], v0, v[7:10], s[50:51] offset:24 glc
	s_waitcnt vmcnt(0)
	buffer_wbinvl1_vol
	v_cmp_eq_u64_e32 vcc, v[7:8], v[9:10]
	s_or_b64 s[16:17], vcc, s[16:17]
	s_andn2_b64 exec, exec, s[16:17]
	s_cbranch_execnz .LBB8_546
; %bb.547:
	s_or_b64 exec, exec, s[16:17]
.LBB8_548:
	s_or_b64 exec, exec, s[14:15]
.LBB8_549:
	s_or_b64 exec, exec, s[12:13]
	v_mov_b32_e32 v6, 0
	global_load_dwordx2 v[9:10], v6, s[50:51] offset:40
	global_load_dwordx4 v[0:3], v6, s[50:51]
	v_readfirstlane_b32 s12, v7
	v_readfirstlane_b32 s13, v8
	s_mov_b64 s[14:15], exec
	s_waitcnt vmcnt(1)
	v_readfirstlane_b32 s16, v9
	v_readfirstlane_b32 s17, v10
	s_and_b64 s[16:17], s[12:13], s[16:17]
	s_mul_i32 s11, s17, 24
	s_mul_hi_u32 s18, s16, 24
	s_mul_i32 s19, s16, 24
	s_add_i32 s11, s18, s11
	v_mov_b32_e32 v7, s11
	s_waitcnt vmcnt(0)
	v_add_co_u32_e32 v8, vcc, s19, v0
	v_addc_co_u32_e32 v9, vcc, v1, v7, vcc
	s_and_saveexec_b64 s[18:19], s[6:7]
	s_cbranch_execz .LBB8_551
; %bb.550:
	v_mov_b32_e32 v10, s14
	v_mov_b32_e32 v11, s15
	;; [unrolled: 1-line block ×4, first 2 shown]
	global_store_dwordx4 v[8:9], v[10:13], off offset:8
.LBB8_551:
	s_or_b64 exec, exec, s[18:19]
	s_lshl_b64 s[14:15], s[16:17], 12
	v_mov_b32_e32 v7, s15
	v_add_co_u32_e32 v2, vcc, s14, v2
	v_addc_co_u32_e32 v3, vcc, v3, v7, vcc
	s_movk_i32 s11, 0xff1f
	v_and_or_b32 v4, v4, s11, 32
	v_add_co_u32_e32 v10, vcc, v2, v42
	s_mov_b32 s16, 0
	v_mov_b32_e32 v7, v6
	v_readfirstlane_b32 s14, v2
	v_readfirstlane_b32 s15, v3
	v_addc_co_u32_e32 v11, vcc, 0, v3, vcc
	s_mov_b32 s17, s16
	s_mov_b32 s18, s16
	;; [unrolled: 1-line block ×3, first 2 shown]
	s_nop 0
	global_store_dwordx4 v42, v[4:7], s[14:15]
	v_mov_b32_e32 v2, s16
	v_mov_b32_e32 v3, s17
	;; [unrolled: 1-line block ×4, first 2 shown]
	global_store_dwordx4 v42, v[2:5], s[14:15] offset:16
	global_store_dwordx4 v42, v[2:5], s[14:15] offset:32
	;; [unrolled: 1-line block ×3, first 2 shown]
	s_and_saveexec_b64 s[14:15], s[6:7]
	s_cbranch_execz .LBB8_559
; %bb.552:
	v_mov_b32_e32 v6, 0
	global_load_dwordx2 v[14:15], v6, s[50:51] offset:32 glc
	global_load_dwordx2 v[2:3], v6, s[50:51] offset:40
	v_mov_b32_e32 v12, s12
	v_mov_b32_e32 v13, s13
	s_waitcnt vmcnt(0)
	v_readfirstlane_b32 s16, v2
	v_readfirstlane_b32 s17, v3
	s_and_b64 s[16:17], s[16:17], s[12:13]
	s_mul_i32 s11, s17, 24
	s_mul_hi_u32 s17, s16, 24
	s_mul_i32 s16, s16, 24
	s_add_i32 s11, s17, s11
	v_mov_b32_e32 v2, s11
	v_add_co_u32_e32 v4, vcc, s16, v0
	v_addc_co_u32_e32 v5, vcc, v1, v2, vcc
	global_store_dwordx2 v[4:5], v[14:15], off
	s_waitcnt vmcnt(0)
	global_atomic_cmpswap_x2 v[2:3], v6, v[12:15], s[50:51] offset:32 glc
	s_waitcnt vmcnt(0)
	v_cmp_ne_u64_e32 vcc, v[2:3], v[14:15]
	s_and_saveexec_b64 s[16:17], vcc
	s_cbranch_execz .LBB8_555
; %bb.553:
	s_mov_b64 s[18:19], 0
.LBB8_554:                              ; =>This Inner Loop Header: Depth=1
	s_sleep 1
	global_store_dwordx2 v[4:5], v[2:3], off
	v_mov_b32_e32 v0, s12
	v_mov_b32_e32 v1, s13
	s_waitcnt vmcnt(0)
	global_atomic_cmpswap_x2 v[0:1], v6, v[0:3], s[50:51] offset:32 glc
	s_waitcnt vmcnt(0)
	v_cmp_eq_u64_e32 vcc, v[0:1], v[2:3]
	v_mov_b32_e32 v3, v1
	s_or_b64 s[18:19], vcc, s[18:19]
	v_mov_b32_e32 v2, v0
	s_andn2_b64 exec, exec, s[18:19]
	s_cbranch_execnz .LBB8_554
.LBB8_555:
	s_or_b64 exec, exec, s[16:17]
	v_mov_b32_e32 v3, 0
	global_load_dwordx2 v[0:1], v3, s[50:51] offset:16
	s_mov_b64 s[16:17], exec
	v_mbcnt_lo_u32_b32 v2, s16, 0
	v_mbcnt_hi_u32_b32 v2, s17, v2
	v_cmp_eq_u32_e32 vcc, 0, v2
	s_and_saveexec_b64 s[18:19], vcc
	s_cbranch_execz .LBB8_557
; %bb.556:
	s_bcnt1_i32_b64 s11, s[16:17]
	v_mov_b32_e32 v2, s11
	s_waitcnt vmcnt(0)
	global_atomic_add_x2 v[0:1], v[2:3], off offset:8
.LBB8_557:
	s_or_b64 exec, exec, s[18:19]
	s_waitcnt vmcnt(0)
	global_load_dwordx2 v[2:3], v[0:1], off offset:16
	s_waitcnt vmcnt(0)
	v_cmp_eq_u64_e32 vcc, 0, v[2:3]
	s_cbranch_vccnz .LBB8_559
; %bb.558:
	global_load_dword v0, v[0:1], off offset:24
	v_mov_b32_e32 v1, 0
	s_waitcnt vmcnt(0)
	global_store_dwordx2 v[2:3], v[0:1], off
	v_and_b32_e32 v0, 0xffffff, v0
	v_readfirstlane_b32 m0, v0
	s_sendmsg sendmsg(MSG_INTERRUPT)
.LBB8_559:
	s_or_b64 exec, exec, s[14:15]
	s_branch .LBB8_563
.LBB8_560:                              ;   in Loop: Header=BB8_563 Depth=1
	s_or_b64 exec, exec, s[14:15]
	v_readfirstlane_b32 s11, v0
	s_cmp_eq_u32 s11, 0
	s_cbranch_scc1 .LBB8_562
; %bb.561:                              ;   in Loop: Header=BB8_563 Depth=1
	s_sleep 1
	s_cbranch_execnz .LBB8_563
	s_branch .LBB8_565
.LBB8_562:
	s_branch .LBB8_565
.LBB8_563:                              ; =>This Inner Loop Header: Depth=1
	v_mov_b32_e32 v0, 1
	s_and_saveexec_b64 s[14:15], s[6:7]
	s_cbranch_execz .LBB8_560
; %bb.564:                              ;   in Loop: Header=BB8_563 Depth=1
	global_load_dword v0, v[8:9], off offset:20 glc
	s_waitcnt vmcnt(0)
	buffer_wbinvl1_vol
	v_and_b32_e32 v0, 1, v0
	s_branch .LBB8_560
.LBB8_565:
	global_load_dwordx2 v[0:1], v[10:11], off
	s_and_saveexec_b64 s[14:15], s[6:7]
	s_cbranch_execz .LBB8_568
; %bb.566:
	v_mov_b32_e32 v8, 0
	global_load_dwordx2 v[4:5], v8, s[50:51] offset:40
	global_load_dwordx2 v[9:10], v8, s[50:51] offset:24 glc
	global_load_dwordx2 v[6:7], v8, s[50:51]
	v_mov_b32_e32 v3, s13
	s_mov_b64 s[6:7], 0
	s_waitcnt vmcnt(2)
	v_add_co_u32_e32 v11, vcc, 1, v4
	v_addc_co_u32_e32 v12, vcc, 0, v5, vcc
	v_add_co_u32_e32 v2, vcc, s12, v11
	v_addc_co_u32_e32 v3, vcc, v12, v3, vcc
	v_cmp_eq_u64_e32 vcc, 0, v[2:3]
	v_cndmask_b32_e32 v3, v3, v12, vcc
	v_cndmask_b32_e32 v2, v2, v11, vcc
	v_and_b32_e32 v5, v3, v5
	v_and_b32_e32 v4, v2, v4
	v_mul_lo_u32 v5, v5, 24
	v_mul_hi_u32 v11, v4, 24
	v_mul_lo_u32 v12, v4, 24
	s_waitcnt vmcnt(1)
	v_mov_b32_e32 v4, v9
	v_add_u32_e32 v5, v11, v5
	s_waitcnt vmcnt(0)
	v_add_co_u32_e32 v6, vcc, v6, v12
	v_addc_co_u32_e32 v7, vcc, v7, v5, vcc
	global_store_dwordx2 v[6:7], v[9:10], off
	v_mov_b32_e32 v5, v10
	s_waitcnt vmcnt(0)
	global_atomic_cmpswap_x2 v[4:5], v8, v[2:5], s[50:51] offset:24 glc
	s_waitcnt vmcnt(0)
	v_cmp_ne_u64_e32 vcc, v[4:5], v[9:10]
	s_and_b64 exec, exec, vcc
	s_cbranch_execz .LBB8_568
.LBB8_567:                              ; =>This Inner Loop Header: Depth=1
	s_sleep 1
	global_store_dwordx2 v[6:7], v[4:5], off
	s_waitcnt vmcnt(0)
	global_atomic_cmpswap_x2 v[9:10], v8, v[2:5], s[50:51] offset:24 glc
	s_waitcnt vmcnt(0)
	v_cmp_eq_u64_e32 vcc, v[9:10], v[4:5]
	v_mov_b32_e32 v4, v9
	s_or_b64 s[6:7], vcc, s[6:7]
	v_mov_b32_e32 v5, v10
	s_andn2_b64 exec, exec, s[6:7]
	s_cbranch_execnz .LBB8_567
.LBB8_568:
	s_or_b64 exec, exec, s[14:15]
.LBB8_569:
	s_getpc_b64 s[12:13]
	s_add_u32 s12, s12, .str.1@rel32@lo+4
	s_addc_u32 s13, s13, .str.1@rel32@hi+12
	s_cmp_lg_u64 s[12:13], 0
	s_cbranch_scc0 .LBB8_654
; %bb.570:
	s_waitcnt vmcnt(0)
	v_and_b32_e32 v6, -3, v0
	v_mov_b32_e32 v7, v1
	s_mov_b64 s[14:15], 0x53
	v_mov_b32_e32 v26, 0
	v_mov_b32_e32 v4, 2
	v_mov_b32_e32 v5, 1
	s_branch .LBB8_572
.LBB8_571:                              ;   in Loop: Header=BB8_572 Depth=1
	s_or_b64 exec, exec, s[20:21]
	s_sub_u32 s14, s14, s16
	s_subb_u32 s15, s15, s17
	s_add_u32 s12, s12, s16
	s_addc_u32 s13, s13, s17
	s_cmp_lg_u64 s[14:15], 0
	s_cbranch_scc0 .LBB8_653
.LBB8_572:                              ; =>This Loop Header: Depth=1
                                        ;     Child Loop BB8_575 Depth 2
                                        ;     Child Loop BB8_582 Depth 2
	;; [unrolled: 1-line block ×11, first 2 shown]
	v_cmp_lt_u64_e64 s[6:7], s[14:15], 56
	v_cmp_gt_u64_e64 s[18:19], s[14:15], 7
	s_and_b64 s[6:7], s[6:7], exec
	s_cselect_b32 s17, s15, 0
	s_cselect_b32 s16, s14, 56
	s_and_b64 vcc, exec, s[18:19]
	s_cbranch_vccnz .LBB8_577
; %bb.573:                              ;   in Loop: Header=BB8_572 Depth=1
	s_waitcnt vmcnt(0)
	v_mov_b32_e32 v8, 0
	s_cmp_eq_u64 s[14:15], 0
	v_mov_b32_e32 v9, 0
	s_mov_b64 s[6:7], 0
	s_cbranch_scc1 .LBB8_576
; %bb.574:                              ;   in Loop: Header=BB8_572 Depth=1
	v_mov_b32_e32 v8, 0
	s_lshl_b64 s[18:19], s[16:17], 3
	s_mov_b64 s[20:21], 0
	v_mov_b32_e32 v9, 0
	s_mov_b64 s[22:23], s[12:13]
.LBB8_575:                              ;   Parent Loop BB8_572 Depth=1
                                        ; =>  This Inner Loop Header: Depth=2
	global_load_ubyte v2, v26, s[22:23]
	s_waitcnt vmcnt(0)
	v_and_b32_e32 v25, 0xffff, v2
	v_lshlrev_b64 v[2:3], s20, v[25:26]
	s_add_u32 s20, s20, 8
	s_addc_u32 s21, s21, 0
	s_add_u32 s22, s22, 1
	s_addc_u32 s23, s23, 0
	v_or_b32_e32 v8, v2, v8
	s_cmp_lg_u32 s18, s20
	v_or_b32_e32 v9, v3, v9
	s_cbranch_scc1 .LBB8_575
.LBB8_576:                              ;   in Loop: Header=BB8_572 Depth=1
	s_mov_b32 s11, 0
	s_andn2_b64 vcc, exec, s[6:7]
	s_mov_b64 s[6:7], s[12:13]
	s_cbranch_vccz .LBB8_578
	s_branch .LBB8_579
.LBB8_577:                              ;   in Loop: Header=BB8_572 Depth=1
                                        ; implicit-def: $sgpr11
	s_mov_b64 s[6:7], s[12:13]
.LBB8_578:                              ;   in Loop: Header=BB8_572 Depth=1
	global_load_dwordx2 v[8:9], v26, s[12:13]
	s_add_i32 s11, s16, -8
	s_add_u32 s6, s12, 8
	s_addc_u32 s7, s13, 0
.LBB8_579:                              ;   in Loop: Header=BB8_572 Depth=1
	s_cmp_gt_u32 s11, 7
	s_cbranch_scc1 .LBB8_583
; %bb.580:                              ;   in Loop: Header=BB8_572 Depth=1
	s_cmp_eq_u32 s11, 0
	s_cbranch_scc1 .LBB8_584
; %bb.581:                              ;   in Loop: Header=BB8_572 Depth=1
	v_mov_b32_e32 v10, 0
	s_mov_b64 s[18:19], 0
	v_mov_b32_e32 v11, 0
	s_mov_b64 s[20:21], 0
.LBB8_582:                              ;   Parent Loop BB8_572 Depth=1
                                        ; =>  This Inner Loop Header: Depth=2
	s_add_u32 s22, s6, s20
	s_addc_u32 s23, s7, s21
	global_load_ubyte v2, v26, s[22:23]
	s_add_u32 s20, s20, 1
	s_addc_u32 s21, s21, 0
	s_waitcnt vmcnt(0)
	v_and_b32_e32 v25, 0xffff, v2
	v_lshlrev_b64 v[2:3], s18, v[25:26]
	s_add_u32 s18, s18, 8
	s_addc_u32 s19, s19, 0
	v_or_b32_e32 v10, v2, v10
	s_cmp_lg_u32 s11, s20
	v_or_b32_e32 v11, v3, v11
	s_cbranch_scc1 .LBB8_582
	s_branch .LBB8_585
.LBB8_583:                              ;   in Loop: Header=BB8_572 Depth=1
                                        ; implicit-def: $vgpr10_vgpr11
                                        ; implicit-def: $sgpr22
	s_branch .LBB8_586
.LBB8_584:                              ;   in Loop: Header=BB8_572 Depth=1
	v_mov_b32_e32 v10, 0
	v_mov_b32_e32 v11, 0
.LBB8_585:                              ;   in Loop: Header=BB8_572 Depth=1
	s_mov_b32 s22, 0
	s_cbranch_execnz .LBB8_587
.LBB8_586:                              ;   in Loop: Header=BB8_572 Depth=1
	global_load_dwordx2 v[10:11], v26, s[6:7]
	s_add_i32 s22, s11, -8
	s_add_u32 s6, s6, 8
	s_addc_u32 s7, s7, 0
.LBB8_587:                              ;   in Loop: Header=BB8_572 Depth=1
	s_cmp_gt_u32 s22, 7
	s_cbranch_scc1 .LBB8_591
; %bb.588:                              ;   in Loop: Header=BB8_572 Depth=1
	s_cmp_eq_u32 s22, 0
	s_cbranch_scc1 .LBB8_592
; %bb.589:                              ;   in Loop: Header=BB8_572 Depth=1
	v_mov_b32_e32 v12, 0
	s_mov_b64 s[18:19], 0
	v_mov_b32_e32 v13, 0
	s_mov_b64 s[20:21], 0
.LBB8_590:                              ;   Parent Loop BB8_572 Depth=1
                                        ; =>  This Inner Loop Header: Depth=2
	s_add_u32 s24, s6, s20
	s_addc_u32 s25, s7, s21
	global_load_ubyte v2, v26, s[24:25]
	s_add_u32 s20, s20, 1
	s_addc_u32 s21, s21, 0
	s_waitcnt vmcnt(0)
	v_and_b32_e32 v25, 0xffff, v2
	v_lshlrev_b64 v[2:3], s18, v[25:26]
	s_add_u32 s18, s18, 8
	s_addc_u32 s19, s19, 0
	v_or_b32_e32 v12, v2, v12
	s_cmp_lg_u32 s22, s20
	v_or_b32_e32 v13, v3, v13
	s_cbranch_scc1 .LBB8_590
	s_branch .LBB8_593
.LBB8_591:                              ;   in Loop: Header=BB8_572 Depth=1
                                        ; implicit-def: $sgpr11
	s_branch .LBB8_594
.LBB8_592:                              ;   in Loop: Header=BB8_572 Depth=1
	v_mov_b32_e32 v12, 0
	v_mov_b32_e32 v13, 0
.LBB8_593:                              ;   in Loop: Header=BB8_572 Depth=1
	s_mov_b32 s11, 0
	s_cbranch_execnz .LBB8_595
.LBB8_594:                              ;   in Loop: Header=BB8_572 Depth=1
	global_load_dwordx2 v[12:13], v26, s[6:7]
	s_add_i32 s11, s22, -8
	s_add_u32 s6, s6, 8
	s_addc_u32 s7, s7, 0
.LBB8_595:                              ;   in Loop: Header=BB8_572 Depth=1
	s_cmp_gt_u32 s11, 7
	s_cbranch_scc1 .LBB8_599
; %bb.596:                              ;   in Loop: Header=BB8_572 Depth=1
	s_cmp_eq_u32 s11, 0
	s_cbranch_scc1 .LBB8_600
; %bb.597:                              ;   in Loop: Header=BB8_572 Depth=1
	v_mov_b32_e32 v14, 0
	s_mov_b64 s[18:19], 0
	v_mov_b32_e32 v15, 0
	s_mov_b64 s[20:21], 0
.LBB8_598:                              ;   Parent Loop BB8_572 Depth=1
                                        ; =>  This Inner Loop Header: Depth=2
	s_add_u32 s22, s6, s20
	s_addc_u32 s23, s7, s21
	global_load_ubyte v2, v26, s[22:23]
	s_add_u32 s20, s20, 1
	s_addc_u32 s21, s21, 0
	s_waitcnt vmcnt(0)
	v_and_b32_e32 v25, 0xffff, v2
	v_lshlrev_b64 v[2:3], s18, v[25:26]
	s_add_u32 s18, s18, 8
	s_addc_u32 s19, s19, 0
	v_or_b32_e32 v14, v2, v14
	s_cmp_lg_u32 s11, s20
	v_or_b32_e32 v15, v3, v15
	s_cbranch_scc1 .LBB8_598
	s_branch .LBB8_601
.LBB8_599:                              ;   in Loop: Header=BB8_572 Depth=1
                                        ; implicit-def: $vgpr14_vgpr15
                                        ; implicit-def: $sgpr22
	s_branch .LBB8_602
.LBB8_600:                              ;   in Loop: Header=BB8_572 Depth=1
	v_mov_b32_e32 v14, 0
	v_mov_b32_e32 v15, 0
.LBB8_601:                              ;   in Loop: Header=BB8_572 Depth=1
	s_mov_b32 s22, 0
	s_cbranch_execnz .LBB8_603
.LBB8_602:                              ;   in Loop: Header=BB8_572 Depth=1
	global_load_dwordx2 v[14:15], v26, s[6:7]
	s_add_i32 s22, s11, -8
	s_add_u32 s6, s6, 8
	s_addc_u32 s7, s7, 0
.LBB8_603:                              ;   in Loop: Header=BB8_572 Depth=1
	s_cmp_gt_u32 s22, 7
	s_cbranch_scc1 .LBB8_607
; %bb.604:                              ;   in Loop: Header=BB8_572 Depth=1
	s_cmp_eq_u32 s22, 0
	s_cbranch_scc1 .LBB8_608
; %bb.605:                              ;   in Loop: Header=BB8_572 Depth=1
	v_mov_b32_e32 v16, 0
	s_mov_b64 s[18:19], 0
	v_mov_b32_e32 v17, 0
	s_mov_b64 s[20:21], 0
.LBB8_606:                              ;   Parent Loop BB8_572 Depth=1
                                        ; =>  This Inner Loop Header: Depth=2
	s_add_u32 s24, s6, s20
	s_addc_u32 s25, s7, s21
	global_load_ubyte v2, v26, s[24:25]
	s_add_u32 s20, s20, 1
	s_addc_u32 s21, s21, 0
	s_waitcnt vmcnt(0)
	v_and_b32_e32 v25, 0xffff, v2
	v_lshlrev_b64 v[2:3], s18, v[25:26]
	s_add_u32 s18, s18, 8
	s_addc_u32 s19, s19, 0
	v_or_b32_e32 v16, v2, v16
	s_cmp_lg_u32 s22, s20
	v_or_b32_e32 v17, v3, v17
	s_cbranch_scc1 .LBB8_606
	s_branch .LBB8_609
.LBB8_607:                              ;   in Loop: Header=BB8_572 Depth=1
                                        ; implicit-def: $sgpr11
	s_branch .LBB8_610
.LBB8_608:                              ;   in Loop: Header=BB8_572 Depth=1
	v_mov_b32_e32 v16, 0
	v_mov_b32_e32 v17, 0
.LBB8_609:                              ;   in Loop: Header=BB8_572 Depth=1
	s_mov_b32 s11, 0
	s_cbranch_execnz .LBB8_611
.LBB8_610:                              ;   in Loop: Header=BB8_572 Depth=1
	global_load_dwordx2 v[16:17], v26, s[6:7]
	s_add_i32 s11, s22, -8
	s_add_u32 s6, s6, 8
	s_addc_u32 s7, s7, 0
.LBB8_611:                              ;   in Loop: Header=BB8_572 Depth=1
	s_cmp_gt_u32 s11, 7
	s_cbranch_scc1 .LBB8_615
; %bb.612:                              ;   in Loop: Header=BB8_572 Depth=1
	s_cmp_eq_u32 s11, 0
	s_cbranch_scc1 .LBB8_616
; %bb.613:                              ;   in Loop: Header=BB8_572 Depth=1
	v_mov_b32_e32 v18, 0
	s_mov_b64 s[18:19], 0
	v_mov_b32_e32 v19, 0
	s_mov_b64 s[20:21], 0
.LBB8_614:                              ;   Parent Loop BB8_572 Depth=1
                                        ; =>  This Inner Loop Header: Depth=2
	s_add_u32 s22, s6, s20
	s_addc_u32 s23, s7, s21
	global_load_ubyte v2, v26, s[22:23]
	s_add_u32 s20, s20, 1
	s_addc_u32 s21, s21, 0
	s_waitcnt vmcnt(0)
	v_and_b32_e32 v25, 0xffff, v2
	v_lshlrev_b64 v[2:3], s18, v[25:26]
	s_add_u32 s18, s18, 8
	s_addc_u32 s19, s19, 0
	v_or_b32_e32 v18, v2, v18
	s_cmp_lg_u32 s11, s20
	v_or_b32_e32 v19, v3, v19
	s_cbranch_scc1 .LBB8_614
	s_branch .LBB8_617
.LBB8_615:                              ;   in Loop: Header=BB8_572 Depth=1
                                        ; implicit-def: $vgpr18_vgpr19
                                        ; implicit-def: $sgpr22
	s_branch .LBB8_618
.LBB8_616:                              ;   in Loop: Header=BB8_572 Depth=1
	v_mov_b32_e32 v18, 0
	v_mov_b32_e32 v19, 0
.LBB8_617:                              ;   in Loop: Header=BB8_572 Depth=1
	s_mov_b32 s22, 0
	s_cbranch_execnz .LBB8_619
.LBB8_618:                              ;   in Loop: Header=BB8_572 Depth=1
	global_load_dwordx2 v[18:19], v26, s[6:7]
	s_add_i32 s22, s11, -8
	s_add_u32 s6, s6, 8
	s_addc_u32 s7, s7, 0
.LBB8_619:                              ;   in Loop: Header=BB8_572 Depth=1
	s_cmp_gt_u32 s22, 7
	s_cbranch_scc1 .LBB8_623
; %bb.620:                              ;   in Loop: Header=BB8_572 Depth=1
	s_cmp_eq_u32 s22, 0
	s_cbranch_scc1 .LBB8_624
; %bb.621:                              ;   in Loop: Header=BB8_572 Depth=1
	v_mov_b32_e32 v20, 0
	s_mov_b64 s[18:19], 0
	v_mov_b32_e32 v21, 0
	s_mov_b64 s[20:21], s[6:7]
.LBB8_622:                              ;   Parent Loop BB8_572 Depth=1
                                        ; =>  This Inner Loop Header: Depth=2
	global_load_ubyte v2, v26, s[20:21]
	s_add_i32 s22, s22, -1
	s_waitcnt vmcnt(0)
	v_and_b32_e32 v25, 0xffff, v2
	v_lshlrev_b64 v[2:3], s18, v[25:26]
	s_add_u32 s18, s18, 8
	s_addc_u32 s19, s19, 0
	s_add_u32 s20, s20, 1
	s_addc_u32 s21, s21, 0
	v_or_b32_e32 v20, v2, v20
	s_cmp_lg_u32 s22, 0
	v_or_b32_e32 v21, v3, v21
	s_cbranch_scc1 .LBB8_622
	s_branch .LBB8_625
.LBB8_623:                              ;   in Loop: Header=BB8_572 Depth=1
	s_branch .LBB8_626
.LBB8_624:                              ;   in Loop: Header=BB8_572 Depth=1
	v_mov_b32_e32 v20, 0
	v_mov_b32_e32 v21, 0
.LBB8_625:                              ;   in Loop: Header=BB8_572 Depth=1
	s_cbranch_execnz .LBB8_627
.LBB8_626:                              ;   in Loop: Header=BB8_572 Depth=1
	global_load_dwordx2 v[20:21], v26, s[6:7]
.LBB8_627:                              ;   in Loop: Header=BB8_572 Depth=1
	v_readfirstlane_b32 s6, v43
	v_mov_b32_e32 v2, 0
	v_mov_b32_e32 v3, 0
	v_cmp_eq_u32_e64 s[6:7], s6, v43
	s_and_saveexec_b64 s[18:19], s[6:7]
	s_cbranch_execz .LBB8_633
; %bb.628:                              ;   in Loop: Header=BB8_572 Depth=1
	global_load_dwordx2 v[24:25], v26, s[50:51] offset:24 glc
	s_waitcnt vmcnt(0)
	buffer_wbinvl1_vol
	global_load_dwordx2 v[2:3], v26, s[50:51] offset:40
	global_load_dwordx2 v[22:23], v26, s[50:51]
	s_waitcnt vmcnt(1)
	v_and_b32_e32 v2, v2, v24
	v_and_b32_e32 v3, v3, v25
	v_mul_lo_u32 v3, v3, 24
	v_mul_hi_u32 v27, v2, 24
	v_mul_lo_u32 v2, v2, 24
	v_add_u32_e32 v3, v27, v3
	s_waitcnt vmcnt(0)
	v_add_co_u32_e32 v2, vcc, v22, v2
	v_addc_co_u32_e32 v3, vcc, v23, v3, vcc
	global_load_dwordx2 v[22:23], v[2:3], off glc
	s_waitcnt vmcnt(0)
	global_atomic_cmpswap_x2 v[2:3], v26, v[22:25], s[50:51] offset:24 glc
	s_waitcnt vmcnt(0)
	buffer_wbinvl1_vol
	v_cmp_ne_u64_e32 vcc, v[2:3], v[24:25]
	s_and_saveexec_b64 s[20:21], vcc
	s_cbranch_execz .LBB8_632
; %bb.629:                              ;   in Loop: Header=BB8_572 Depth=1
	s_mov_b64 s[22:23], 0
.LBB8_630:                              ;   Parent Loop BB8_572 Depth=1
                                        ; =>  This Inner Loop Header: Depth=2
	s_sleep 1
	global_load_dwordx2 v[22:23], v26, s[50:51] offset:40
	global_load_dwordx2 v[27:28], v26, s[50:51]
	v_mov_b32_e32 v25, v3
	v_mov_b32_e32 v24, v2
	s_waitcnt vmcnt(1)
	v_and_b32_e32 v2, v22, v24
	s_waitcnt vmcnt(0)
	v_mad_u64_u32 v[2:3], s[24:25], v2, 24, v[27:28]
	v_and_b32_e32 v22, v23, v25
	v_mad_u64_u32 v[22:23], s[24:25], v22, 24, v[3:4]
	v_mov_b32_e32 v3, v22
	global_load_dwordx2 v[22:23], v[2:3], off glc
	s_waitcnt vmcnt(0)
	global_atomic_cmpswap_x2 v[2:3], v26, v[22:25], s[50:51] offset:24 glc
	s_waitcnt vmcnt(0)
	buffer_wbinvl1_vol
	v_cmp_eq_u64_e32 vcc, v[2:3], v[24:25]
	s_or_b64 s[22:23], vcc, s[22:23]
	s_andn2_b64 exec, exec, s[22:23]
	s_cbranch_execnz .LBB8_630
; %bb.631:                              ;   in Loop: Header=BB8_572 Depth=1
	s_or_b64 exec, exec, s[22:23]
.LBB8_632:                              ;   in Loop: Header=BB8_572 Depth=1
	s_or_b64 exec, exec, s[20:21]
.LBB8_633:                              ;   in Loop: Header=BB8_572 Depth=1
	s_or_b64 exec, exec, s[18:19]
	global_load_dwordx2 v[27:28], v26, s[50:51] offset:40
	global_load_dwordx4 v[22:25], v26, s[50:51]
	v_readfirstlane_b32 s18, v2
	v_readfirstlane_b32 s19, v3
	s_mov_b64 s[20:21], exec
	s_waitcnt vmcnt(1)
	v_readfirstlane_b32 s22, v27
	v_readfirstlane_b32 s23, v28
	s_and_b64 s[22:23], s[18:19], s[22:23]
	s_mul_i32 s11, s23, 24
	s_mul_hi_u32 s24, s22, 24
	s_mul_i32 s25, s22, 24
	s_add_i32 s11, s24, s11
	v_mov_b32_e32 v2, s11
	s_waitcnt vmcnt(0)
	v_add_co_u32_e32 v27, vcc, s25, v22
	v_addc_co_u32_e32 v28, vcc, v23, v2, vcc
	s_and_saveexec_b64 s[24:25], s[6:7]
	s_cbranch_execz .LBB8_635
; %bb.634:                              ;   in Loop: Header=BB8_572 Depth=1
	v_mov_b32_e32 v2, s20
	v_mov_b32_e32 v3, s21
	global_store_dwordx4 v[27:28], v[2:5], off offset:8
.LBB8_635:                              ;   in Loop: Header=BB8_572 Depth=1
	s_or_b64 exec, exec, s[24:25]
	s_lshl_b64 s[20:21], s[22:23], 12
	v_mov_b32_e32 v2, s21
	v_add_co_u32_e32 v24, vcc, s20, v24
	v_addc_co_u32_e32 v29, vcc, v25, v2, vcc
	v_cmp_gt_u64_e64 vcc, s[14:15], 56
	v_or_b32_e32 v2, 2, v6
	s_lshl_b32 s11, s16, 2
	v_cndmask_b32_e32 v2, v2, v6, vcc
	s_add_i32 s11, s11, 28
	s_and_b32 s11, s11, 0x1e0
	v_and_b32_e32 v2, 0xffffff1f, v2
	v_or_b32_e32 v6, s11, v2
	v_readfirstlane_b32 s20, v24
	v_readfirstlane_b32 s21, v29
	s_nop 4
	global_store_dwordx4 v42, v[6:9], s[20:21]
	global_store_dwordx4 v42, v[10:13], s[20:21] offset:16
	global_store_dwordx4 v42, v[14:17], s[20:21] offset:32
	;; [unrolled: 1-line block ×3, first 2 shown]
	s_and_saveexec_b64 s[20:21], s[6:7]
	s_cbranch_execz .LBB8_643
; %bb.636:                              ;   in Loop: Header=BB8_572 Depth=1
	global_load_dwordx2 v[10:11], v26, s[50:51] offset:32 glc
	global_load_dwordx2 v[2:3], v26, s[50:51] offset:40
	v_mov_b32_e32 v8, s18
	v_mov_b32_e32 v9, s19
	s_waitcnt vmcnt(0)
	v_readfirstlane_b32 s22, v2
	v_readfirstlane_b32 s23, v3
	s_and_b64 s[22:23], s[22:23], s[18:19]
	s_mul_i32 s11, s23, 24
	s_mul_hi_u32 s23, s22, 24
	s_mul_i32 s22, s22, 24
	s_add_i32 s11, s23, s11
	v_mov_b32_e32 v3, s11
	v_add_co_u32_e32 v2, vcc, s22, v22
	v_addc_co_u32_e32 v3, vcc, v23, v3, vcc
	global_store_dwordx2 v[2:3], v[10:11], off
	s_waitcnt vmcnt(0)
	global_atomic_cmpswap_x2 v[8:9], v26, v[8:11], s[50:51] offset:32 glc
	s_waitcnt vmcnt(0)
	v_cmp_ne_u64_e32 vcc, v[8:9], v[10:11]
	s_and_saveexec_b64 s[22:23], vcc
	s_cbranch_execz .LBB8_639
; %bb.637:                              ;   in Loop: Header=BB8_572 Depth=1
	s_mov_b64 s[24:25], 0
.LBB8_638:                              ;   Parent Loop BB8_572 Depth=1
                                        ; =>  This Inner Loop Header: Depth=2
	s_sleep 1
	global_store_dwordx2 v[2:3], v[8:9], off
	v_mov_b32_e32 v6, s18
	v_mov_b32_e32 v7, s19
	s_waitcnt vmcnt(0)
	global_atomic_cmpswap_x2 v[6:7], v26, v[6:9], s[50:51] offset:32 glc
	s_waitcnt vmcnt(0)
	v_cmp_eq_u64_e32 vcc, v[6:7], v[8:9]
	v_mov_b32_e32 v9, v7
	s_or_b64 s[24:25], vcc, s[24:25]
	v_mov_b32_e32 v8, v6
	s_andn2_b64 exec, exec, s[24:25]
	s_cbranch_execnz .LBB8_638
.LBB8_639:                              ;   in Loop: Header=BB8_572 Depth=1
	s_or_b64 exec, exec, s[22:23]
	global_load_dwordx2 v[2:3], v26, s[50:51] offset:16
	s_mov_b64 s[24:25], exec
	v_mbcnt_lo_u32_b32 v6, s24, 0
	v_mbcnt_hi_u32_b32 v6, s25, v6
	v_cmp_eq_u32_e32 vcc, 0, v6
	s_and_saveexec_b64 s[22:23], vcc
	s_cbranch_execz .LBB8_641
; %bb.640:                              ;   in Loop: Header=BB8_572 Depth=1
	s_bcnt1_i32_b64 s11, s[24:25]
	v_mov_b32_e32 v25, s11
	s_waitcnt vmcnt(0)
	global_atomic_add_x2 v[2:3], v[25:26], off offset:8
.LBB8_641:                              ;   in Loop: Header=BB8_572 Depth=1
	s_or_b64 exec, exec, s[22:23]
	s_waitcnt vmcnt(0)
	global_load_dwordx2 v[6:7], v[2:3], off offset:16
	s_waitcnt vmcnt(0)
	v_cmp_eq_u64_e32 vcc, 0, v[6:7]
	s_cbranch_vccnz .LBB8_643
; %bb.642:                              ;   in Loop: Header=BB8_572 Depth=1
	global_load_dword v25, v[2:3], off offset:24
	s_waitcnt vmcnt(0)
	v_and_b32_e32 v2, 0xffffff, v25
	v_readfirstlane_b32 m0, v2
	global_store_dwordx2 v[6:7], v[25:26], off
	s_sendmsg sendmsg(MSG_INTERRUPT)
.LBB8_643:                              ;   in Loop: Header=BB8_572 Depth=1
	s_or_b64 exec, exec, s[20:21]
	v_add_co_u32_e32 v2, vcc, v24, v42
	v_addc_co_u32_e32 v3, vcc, 0, v29, vcc
	s_branch .LBB8_647
.LBB8_644:                              ;   in Loop: Header=BB8_647 Depth=2
	s_or_b64 exec, exec, s[20:21]
	v_readfirstlane_b32 s11, v6
	s_cmp_eq_u32 s11, 0
	s_cbranch_scc1 .LBB8_646
; %bb.645:                              ;   in Loop: Header=BB8_647 Depth=2
	s_sleep 1
	s_cbranch_execnz .LBB8_647
	s_branch .LBB8_649
.LBB8_646:                              ;   in Loop: Header=BB8_572 Depth=1
	s_branch .LBB8_649
.LBB8_647:                              ;   Parent Loop BB8_572 Depth=1
                                        ; =>  This Inner Loop Header: Depth=2
	v_mov_b32_e32 v6, 1
	s_and_saveexec_b64 s[20:21], s[6:7]
	s_cbranch_execz .LBB8_644
; %bb.648:                              ;   in Loop: Header=BB8_647 Depth=2
	global_load_dword v6, v[27:28], off offset:20 glc
	s_waitcnt vmcnt(0)
	buffer_wbinvl1_vol
	v_and_b32_e32 v6, 1, v6
	s_branch .LBB8_644
.LBB8_649:                              ;   in Loop: Header=BB8_572 Depth=1
	global_load_dwordx4 v[6:9], v[2:3], off
	s_and_saveexec_b64 s[20:21], s[6:7]
	s_cbranch_execz .LBB8_571
; %bb.650:                              ;   in Loop: Header=BB8_572 Depth=1
	global_load_dwordx2 v[2:3], v26, s[50:51] offset:40
	global_load_dwordx2 v[12:13], v26, s[50:51] offset:24 glc
	global_load_dwordx2 v[14:15], v26, s[50:51]
	s_waitcnt vmcnt(3)
	v_mov_b32_e32 v9, s19
	s_waitcnt vmcnt(2)
	v_add_co_u32_e32 v10, vcc, 1, v2
	v_addc_co_u32_e32 v11, vcc, 0, v3, vcc
	v_add_co_u32_e32 v8, vcc, s18, v10
	v_addc_co_u32_e32 v9, vcc, v11, v9, vcc
	v_cmp_eq_u64_e32 vcc, 0, v[8:9]
	v_cndmask_b32_e32 v9, v9, v11, vcc
	v_cndmask_b32_e32 v8, v8, v10, vcc
	v_and_b32_e32 v3, v9, v3
	v_and_b32_e32 v2, v8, v2
	v_mul_lo_u32 v3, v3, 24
	v_mul_hi_u32 v11, v2, 24
	v_mul_lo_u32 v2, v2, 24
	s_waitcnt vmcnt(1)
	v_mov_b32_e32 v10, v12
	v_add_u32_e32 v3, v11, v3
	s_waitcnt vmcnt(0)
	v_add_co_u32_e32 v2, vcc, v14, v2
	v_addc_co_u32_e32 v3, vcc, v15, v3, vcc
	global_store_dwordx2 v[2:3], v[12:13], off
	v_mov_b32_e32 v11, v13
	s_waitcnt vmcnt(0)
	global_atomic_cmpswap_x2 v[10:11], v26, v[8:11], s[50:51] offset:24 glc
	s_waitcnt vmcnt(0)
	v_cmp_ne_u64_e32 vcc, v[10:11], v[12:13]
	s_and_b64 exec, exec, vcc
	s_cbranch_execz .LBB8_571
; %bb.651:                              ;   in Loop: Header=BB8_572 Depth=1
	s_mov_b64 s[6:7], 0
.LBB8_652:                              ;   Parent Loop BB8_572 Depth=1
                                        ; =>  This Inner Loop Header: Depth=2
	s_sleep 1
	global_store_dwordx2 v[2:3], v[10:11], off
	s_waitcnt vmcnt(0)
	global_atomic_cmpswap_x2 v[12:13], v26, v[8:11], s[50:51] offset:24 glc
	s_waitcnt vmcnt(0)
	v_cmp_eq_u64_e32 vcc, v[12:13], v[10:11]
	v_mov_b32_e32 v10, v12
	s_or_b64 s[6:7], vcc, s[6:7]
	v_mov_b32_e32 v11, v13
	s_andn2_b64 exec, exec, s[6:7]
	s_cbranch_execnz .LBB8_652
	s_branch .LBB8_571
.LBB8_653:
	s_mov_b64 s[6:7], 0
	s_branch .LBB8_655
.LBB8_654:
	s_mov_b64 s[6:7], -1
.LBB8_655:
	s_and_b64 vcc, exec, s[6:7]
	s_cbranch_vccz .LBB8_682
; %bb.656:
	v_readfirstlane_b32 s6, v43
	s_waitcnt vmcnt(0)
	v_mov_b32_e32 v8, 0
	v_mov_b32_e32 v9, 0
	v_cmp_eq_u32_e64 s[6:7], s6, v43
	s_and_saveexec_b64 s[12:13], s[6:7]
	s_cbranch_execz .LBB8_662
; %bb.657:
	v_mov_b32_e32 v2, 0
	global_load_dwordx2 v[5:6], v2, s[50:51] offset:24 glc
	s_waitcnt vmcnt(0)
	buffer_wbinvl1_vol
	global_load_dwordx2 v[3:4], v2, s[50:51] offset:40
	global_load_dwordx2 v[7:8], v2, s[50:51]
	s_waitcnt vmcnt(1)
	v_and_b32_e32 v3, v3, v5
	v_and_b32_e32 v4, v4, v6
	v_mul_lo_u32 v4, v4, 24
	v_mul_hi_u32 v9, v3, 24
	v_mul_lo_u32 v3, v3, 24
	v_add_u32_e32 v4, v9, v4
	s_waitcnt vmcnt(0)
	v_add_co_u32_e32 v3, vcc, v7, v3
	v_addc_co_u32_e32 v4, vcc, v8, v4, vcc
	global_load_dwordx2 v[3:4], v[3:4], off glc
	s_waitcnt vmcnt(0)
	global_atomic_cmpswap_x2 v[8:9], v2, v[3:6], s[50:51] offset:24 glc
	s_waitcnt vmcnt(0)
	buffer_wbinvl1_vol
	v_cmp_ne_u64_e32 vcc, v[8:9], v[5:6]
	s_and_saveexec_b64 s[14:15], vcc
	s_cbranch_execz .LBB8_661
; %bb.658:
	s_mov_b64 s[16:17], 0
.LBB8_659:                              ; =>This Inner Loop Header: Depth=1
	s_sleep 1
	global_load_dwordx2 v[3:4], v2, s[50:51] offset:40
	global_load_dwordx2 v[10:11], v2, s[50:51]
	v_mov_b32_e32 v5, v8
	v_mov_b32_e32 v6, v9
	s_waitcnt vmcnt(1)
	v_and_b32_e32 v3, v3, v5
	s_waitcnt vmcnt(0)
	v_mad_u64_u32 v[7:8], s[18:19], v3, 24, v[10:11]
	v_and_b32_e32 v4, v4, v6
	v_mov_b32_e32 v3, v8
	v_mad_u64_u32 v[3:4], s[18:19], v4, 24, v[3:4]
	v_mov_b32_e32 v8, v3
	global_load_dwordx2 v[3:4], v[7:8], off glc
	s_waitcnt vmcnt(0)
	global_atomic_cmpswap_x2 v[8:9], v2, v[3:6], s[50:51] offset:24 glc
	s_waitcnt vmcnt(0)
	buffer_wbinvl1_vol
	v_cmp_eq_u64_e32 vcc, v[8:9], v[5:6]
	s_or_b64 s[16:17], vcc, s[16:17]
	s_andn2_b64 exec, exec, s[16:17]
	s_cbranch_execnz .LBB8_659
; %bb.660:
	s_or_b64 exec, exec, s[16:17]
.LBB8_661:
	s_or_b64 exec, exec, s[14:15]
.LBB8_662:
	s_or_b64 exec, exec, s[12:13]
	v_mov_b32_e32 v2, 0
	global_load_dwordx2 v[10:11], v2, s[50:51] offset:40
	global_load_dwordx4 v[4:7], v2, s[50:51]
	v_readfirstlane_b32 s12, v8
	v_readfirstlane_b32 s13, v9
	s_mov_b64 s[14:15], exec
	s_waitcnt vmcnt(1)
	v_readfirstlane_b32 s16, v10
	v_readfirstlane_b32 s17, v11
	s_and_b64 s[16:17], s[12:13], s[16:17]
	s_mul_i32 s11, s17, 24
	s_mul_hi_u32 s18, s16, 24
	s_mul_i32 s19, s16, 24
	s_add_i32 s11, s18, s11
	v_mov_b32_e32 v3, s11
	s_waitcnt vmcnt(0)
	v_add_co_u32_e32 v8, vcc, s19, v4
	v_addc_co_u32_e32 v9, vcc, v5, v3, vcc
	s_and_saveexec_b64 s[18:19], s[6:7]
	s_cbranch_execz .LBB8_664
; %bb.663:
	v_mov_b32_e32 v10, s14
	v_mov_b32_e32 v11, s15
	;; [unrolled: 1-line block ×4, first 2 shown]
	global_store_dwordx4 v[8:9], v[10:13], off offset:8
.LBB8_664:
	s_or_b64 exec, exec, s[18:19]
	s_lshl_b64 s[14:15], s[16:17], 12
	v_mov_b32_e32 v3, s15
	v_add_co_u32_e32 v6, vcc, s14, v6
	v_addc_co_u32_e32 v7, vcc, v7, v3, vcc
	s_movk_i32 s11, 0xff1d
	v_and_or_b32 v0, v0, s11, 34
	s_mov_b32 s16, 0
	v_mov_b32_e32 v3, v2
	v_readfirstlane_b32 s14, v6
	v_readfirstlane_b32 s15, v7
	s_mov_b32 s17, s16
	s_mov_b32 s18, s16
	;; [unrolled: 1-line block ×3, first 2 shown]
	s_nop 1
	global_store_dwordx4 v42, v[0:3], s[14:15]
	s_nop 0
	v_mov_b32_e32 v0, s16
	v_mov_b32_e32 v1, s17
	;; [unrolled: 1-line block ×4, first 2 shown]
	global_store_dwordx4 v42, v[0:3], s[14:15] offset:16
	global_store_dwordx4 v42, v[0:3], s[14:15] offset:32
	;; [unrolled: 1-line block ×3, first 2 shown]
	s_and_saveexec_b64 s[14:15], s[6:7]
	s_cbranch_execz .LBB8_672
; %bb.665:
	v_mov_b32_e32 v6, 0
	global_load_dwordx2 v[12:13], v6, s[50:51] offset:32 glc
	global_load_dwordx2 v[0:1], v6, s[50:51] offset:40
	v_mov_b32_e32 v10, s12
	v_mov_b32_e32 v11, s13
	s_waitcnt vmcnt(0)
	v_readfirstlane_b32 s16, v0
	v_readfirstlane_b32 s17, v1
	s_and_b64 s[16:17], s[16:17], s[12:13]
	s_mul_i32 s11, s17, 24
	s_mul_hi_u32 s17, s16, 24
	s_mul_i32 s16, s16, 24
	s_add_i32 s11, s17, s11
	v_mov_b32_e32 v0, s11
	v_add_co_u32_e32 v4, vcc, s16, v4
	v_addc_co_u32_e32 v5, vcc, v5, v0, vcc
	global_store_dwordx2 v[4:5], v[12:13], off
	s_waitcnt vmcnt(0)
	global_atomic_cmpswap_x2 v[2:3], v6, v[10:13], s[50:51] offset:32 glc
	s_waitcnt vmcnt(0)
	v_cmp_ne_u64_e32 vcc, v[2:3], v[12:13]
	s_and_saveexec_b64 s[16:17], vcc
	s_cbranch_execz .LBB8_668
; %bb.666:
	s_mov_b64 s[18:19], 0
.LBB8_667:                              ; =>This Inner Loop Header: Depth=1
	s_sleep 1
	global_store_dwordx2 v[4:5], v[2:3], off
	v_mov_b32_e32 v0, s12
	v_mov_b32_e32 v1, s13
	s_waitcnt vmcnt(0)
	global_atomic_cmpswap_x2 v[0:1], v6, v[0:3], s[50:51] offset:32 glc
	s_waitcnt vmcnt(0)
	v_cmp_eq_u64_e32 vcc, v[0:1], v[2:3]
	v_mov_b32_e32 v3, v1
	s_or_b64 s[18:19], vcc, s[18:19]
	v_mov_b32_e32 v2, v0
	s_andn2_b64 exec, exec, s[18:19]
	s_cbranch_execnz .LBB8_667
.LBB8_668:
	s_or_b64 exec, exec, s[16:17]
	v_mov_b32_e32 v3, 0
	global_load_dwordx2 v[0:1], v3, s[50:51] offset:16
	s_mov_b64 s[16:17], exec
	v_mbcnt_lo_u32_b32 v2, s16, 0
	v_mbcnt_hi_u32_b32 v2, s17, v2
	v_cmp_eq_u32_e32 vcc, 0, v2
	s_and_saveexec_b64 s[18:19], vcc
	s_cbranch_execz .LBB8_670
; %bb.669:
	s_bcnt1_i32_b64 s11, s[16:17]
	v_mov_b32_e32 v2, s11
	s_waitcnt vmcnt(0)
	global_atomic_add_x2 v[0:1], v[2:3], off offset:8
.LBB8_670:
	s_or_b64 exec, exec, s[18:19]
	s_waitcnt vmcnt(0)
	global_load_dwordx2 v[2:3], v[0:1], off offset:16
	s_waitcnt vmcnt(0)
	v_cmp_eq_u64_e32 vcc, 0, v[2:3]
	s_cbranch_vccnz .LBB8_672
; %bb.671:
	global_load_dword v0, v[0:1], off offset:24
	v_mov_b32_e32 v1, 0
	s_waitcnt vmcnt(0)
	global_store_dwordx2 v[2:3], v[0:1], off
	v_and_b32_e32 v0, 0xffffff, v0
	v_readfirstlane_b32 m0, v0
	s_sendmsg sendmsg(MSG_INTERRUPT)
.LBB8_672:
	s_or_b64 exec, exec, s[14:15]
	s_branch .LBB8_676
.LBB8_673:                              ;   in Loop: Header=BB8_676 Depth=1
	s_or_b64 exec, exec, s[14:15]
	v_readfirstlane_b32 s11, v0
	s_cmp_eq_u32 s11, 0
	s_cbranch_scc1 .LBB8_675
; %bb.674:                              ;   in Loop: Header=BB8_676 Depth=1
	s_sleep 1
	s_cbranch_execnz .LBB8_676
	s_branch .LBB8_678
.LBB8_675:
	s_branch .LBB8_678
.LBB8_676:                              ; =>This Inner Loop Header: Depth=1
	v_mov_b32_e32 v0, 1
	s_and_saveexec_b64 s[14:15], s[6:7]
	s_cbranch_execz .LBB8_673
; %bb.677:                              ;   in Loop: Header=BB8_676 Depth=1
	global_load_dword v0, v[8:9], off offset:20 glc
	s_waitcnt vmcnt(0)
	buffer_wbinvl1_vol
	v_and_b32_e32 v0, 1, v0
	s_branch .LBB8_673
.LBB8_678:
	s_and_saveexec_b64 s[14:15], s[6:7]
	s_cbranch_execz .LBB8_681
; %bb.679:
	v_mov_b32_e32 v6, 0
	global_load_dwordx2 v[2:3], v6, s[50:51] offset:40
	global_load_dwordx2 v[7:8], v6, s[50:51] offset:24 glc
	global_load_dwordx2 v[4:5], v6, s[50:51]
	v_mov_b32_e32 v1, s13
	s_mov_b64 s[6:7], 0
	s_waitcnt vmcnt(2)
	v_add_co_u32_e32 v9, vcc, 1, v2
	v_addc_co_u32_e32 v10, vcc, 0, v3, vcc
	v_add_co_u32_e32 v0, vcc, s12, v9
	v_addc_co_u32_e32 v1, vcc, v10, v1, vcc
	v_cmp_eq_u64_e32 vcc, 0, v[0:1]
	v_cndmask_b32_e32 v1, v1, v10, vcc
	v_cndmask_b32_e32 v0, v0, v9, vcc
	v_and_b32_e32 v3, v1, v3
	v_and_b32_e32 v2, v0, v2
	v_mul_lo_u32 v3, v3, 24
	v_mul_hi_u32 v9, v2, 24
	v_mul_lo_u32 v10, v2, 24
	s_waitcnt vmcnt(1)
	v_mov_b32_e32 v2, v7
	v_add_u32_e32 v3, v9, v3
	s_waitcnt vmcnt(0)
	v_add_co_u32_e32 v4, vcc, v4, v10
	v_addc_co_u32_e32 v5, vcc, v5, v3, vcc
	global_store_dwordx2 v[4:5], v[7:8], off
	v_mov_b32_e32 v3, v8
	s_waitcnt vmcnt(0)
	global_atomic_cmpswap_x2 v[2:3], v6, v[0:3], s[50:51] offset:24 glc
	s_waitcnt vmcnt(0)
	v_cmp_ne_u64_e32 vcc, v[2:3], v[7:8]
	s_and_b64 exec, exec, vcc
	s_cbranch_execz .LBB8_681
.LBB8_680:                              ; =>This Inner Loop Header: Depth=1
	s_sleep 1
	global_store_dwordx2 v[4:5], v[2:3], off
	s_waitcnt vmcnt(0)
	global_atomic_cmpswap_x2 v[7:8], v6, v[0:3], s[50:51] offset:24 glc
	s_waitcnt vmcnt(0)
	v_cmp_eq_u64_e32 vcc, v[7:8], v[2:3]
	v_mov_b32_e32 v2, v7
	s_or_b64 s[6:7], vcc, s[6:7]
	v_mov_b32_e32 v3, v8
	s_andn2_b64 exec, exec, s[6:7]
	s_cbranch_execnz .LBB8_680
.LBB8_681:
	s_or_b64 exec, exec, s[14:15]
.LBB8_682:
	v_readfirstlane_b32 s6, v43
	s_waitcnt vmcnt(0)
	v_mov_b32_e32 v5, 0
	v_mov_b32_e32 v6, 0
	v_cmp_eq_u32_e64 s[6:7], s6, v43
	s_and_saveexec_b64 s[12:13], s[6:7]
	s_cbranch_execz .LBB8_688
; %bb.683:
	v_mov_b32_e32 v0, 0
	global_load_dwordx2 v[3:4], v0, s[50:51] offset:24 glc
	s_waitcnt vmcnt(0)
	buffer_wbinvl1_vol
	global_load_dwordx2 v[1:2], v0, s[50:51] offset:40
	global_load_dwordx2 v[5:6], v0, s[50:51]
	s_waitcnt vmcnt(1)
	v_and_b32_e32 v1, v1, v3
	v_and_b32_e32 v2, v2, v4
	v_mul_lo_u32 v2, v2, 24
	v_mul_hi_u32 v7, v1, 24
	v_mul_lo_u32 v1, v1, 24
	v_add_u32_e32 v2, v7, v2
	s_waitcnt vmcnt(0)
	v_add_co_u32_e32 v1, vcc, v5, v1
	v_addc_co_u32_e32 v2, vcc, v6, v2, vcc
	global_load_dwordx2 v[1:2], v[1:2], off glc
	s_waitcnt vmcnt(0)
	global_atomic_cmpswap_x2 v[5:6], v0, v[1:4], s[50:51] offset:24 glc
	s_waitcnt vmcnt(0)
	buffer_wbinvl1_vol
	v_cmp_ne_u64_e32 vcc, v[5:6], v[3:4]
	s_and_saveexec_b64 s[14:15], vcc
	s_cbranch_execz .LBB8_687
; %bb.684:
	s_mov_b64 s[16:17], 0
.LBB8_685:                              ; =>This Inner Loop Header: Depth=1
	s_sleep 1
	global_load_dwordx2 v[1:2], v0, s[50:51] offset:40
	global_load_dwordx2 v[7:8], v0, s[50:51]
	v_mov_b32_e32 v3, v5
	v_mov_b32_e32 v4, v6
	s_waitcnt vmcnt(1)
	v_and_b32_e32 v1, v1, v3
	s_waitcnt vmcnt(0)
	v_mad_u64_u32 v[5:6], s[18:19], v1, 24, v[7:8]
	v_and_b32_e32 v2, v2, v4
	v_mov_b32_e32 v1, v6
	v_mad_u64_u32 v[1:2], s[18:19], v2, 24, v[1:2]
	v_mov_b32_e32 v6, v1
	global_load_dwordx2 v[1:2], v[5:6], off glc
	s_waitcnt vmcnt(0)
	global_atomic_cmpswap_x2 v[5:6], v0, v[1:4], s[50:51] offset:24 glc
	s_waitcnt vmcnt(0)
	buffer_wbinvl1_vol
	v_cmp_eq_u64_e32 vcc, v[5:6], v[3:4]
	s_or_b64 s[16:17], vcc, s[16:17]
	s_andn2_b64 exec, exec, s[16:17]
	s_cbranch_execnz .LBB8_685
; %bb.686:
	s_or_b64 exec, exec, s[16:17]
.LBB8_687:
	s_or_b64 exec, exec, s[14:15]
.LBB8_688:
	s_or_b64 exec, exec, s[12:13]
	v_mov_b32_e32 v4, 0
	global_load_dwordx2 v[7:8], v4, s[50:51] offset:40
	global_load_dwordx4 v[0:3], v4, s[50:51]
	v_readfirstlane_b32 s12, v5
	v_readfirstlane_b32 s13, v6
	s_mov_b64 s[14:15], exec
	s_waitcnt vmcnt(1)
	v_readfirstlane_b32 s16, v7
	v_readfirstlane_b32 s17, v8
	s_and_b64 s[16:17], s[12:13], s[16:17]
	s_mul_i32 s11, s17, 24
	s_mul_hi_u32 s18, s16, 24
	s_mul_i32 s19, s16, 24
	s_add_i32 s11, s18, s11
	v_mov_b32_e32 v5, s11
	s_waitcnt vmcnt(0)
	v_add_co_u32_e32 v7, vcc, s19, v0
	v_addc_co_u32_e32 v8, vcc, v1, v5, vcc
	s_and_saveexec_b64 s[18:19], s[6:7]
	s_cbranch_execz .LBB8_690
; %bb.689:
	v_mov_b32_e32 v9, s14
	v_mov_b32_e32 v10, s15
	;; [unrolled: 1-line block ×4, first 2 shown]
	global_store_dwordx4 v[7:8], v[9:12], off offset:8
.LBB8_690:
	s_or_b64 exec, exec, s[18:19]
	s_lshl_b64 s[14:15], s[16:17], 12
	v_mov_b32_e32 v5, s15
	v_add_co_u32_e32 v2, vcc, s14, v2
	v_addc_co_u32_e32 v11, vcc, v3, v5, vcc
	s_mov_b32 s16, 0
	v_mov_b32_e32 v3, 33
	v_mov_b32_e32 v5, v4
	;; [unrolled: 1-line block ×3, first 2 shown]
	v_readfirstlane_b32 s14, v2
	v_readfirstlane_b32 s15, v11
	v_add_co_u32_e32 v9, vcc, v2, v42
	s_mov_b32 s17, s16
	s_mov_b32 s18, s16
	;; [unrolled: 1-line block ×3, first 2 shown]
	s_nop 0
	global_store_dwordx4 v42, v[3:6], s[14:15]
	v_mov_b32_e32 v2, s16
	v_addc_co_u32_e32 v10, vcc, 0, v11, vcc
	v_mov_b32_e32 v3, s17
	v_mov_b32_e32 v4, s18
	;; [unrolled: 1-line block ×3, first 2 shown]
	global_store_dwordx4 v42, v[2:5], s[14:15] offset:16
	global_store_dwordx4 v42, v[2:5], s[14:15] offset:32
	;; [unrolled: 1-line block ×3, first 2 shown]
	s_and_saveexec_b64 s[14:15], s[6:7]
	s_cbranch_execz .LBB8_698
; %bb.691:
	v_mov_b32_e32 v6, 0
	global_load_dwordx2 v[13:14], v6, s[50:51] offset:32 glc
	global_load_dwordx2 v[2:3], v6, s[50:51] offset:40
	v_mov_b32_e32 v11, s12
	v_mov_b32_e32 v12, s13
	s_waitcnt vmcnt(0)
	v_readfirstlane_b32 s16, v2
	v_readfirstlane_b32 s17, v3
	s_and_b64 s[16:17], s[16:17], s[12:13]
	s_mul_i32 s11, s17, 24
	s_mul_hi_u32 s17, s16, 24
	s_mul_i32 s16, s16, 24
	s_add_i32 s11, s17, s11
	v_mov_b32_e32 v2, s11
	v_add_co_u32_e32 v4, vcc, s16, v0
	v_addc_co_u32_e32 v5, vcc, v1, v2, vcc
	global_store_dwordx2 v[4:5], v[13:14], off
	s_waitcnt vmcnt(0)
	global_atomic_cmpswap_x2 v[2:3], v6, v[11:14], s[50:51] offset:32 glc
	s_waitcnt vmcnt(0)
	v_cmp_ne_u64_e32 vcc, v[2:3], v[13:14]
	s_and_saveexec_b64 s[16:17], vcc
	s_cbranch_execz .LBB8_694
; %bb.692:
	s_mov_b64 s[18:19], 0
.LBB8_693:                              ; =>This Inner Loop Header: Depth=1
	s_sleep 1
	global_store_dwordx2 v[4:5], v[2:3], off
	v_mov_b32_e32 v0, s12
	v_mov_b32_e32 v1, s13
	s_waitcnt vmcnt(0)
	global_atomic_cmpswap_x2 v[0:1], v6, v[0:3], s[50:51] offset:32 glc
	s_waitcnt vmcnt(0)
	v_cmp_eq_u64_e32 vcc, v[0:1], v[2:3]
	v_mov_b32_e32 v3, v1
	s_or_b64 s[18:19], vcc, s[18:19]
	v_mov_b32_e32 v2, v0
	s_andn2_b64 exec, exec, s[18:19]
	s_cbranch_execnz .LBB8_693
.LBB8_694:
	s_or_b64 exec, exec, s[16:17]
	v_mov_b32_e32 v3, 0
	global_load_dwordx2 v[0:1], v3, s[50:51] offset:16
	s_mov_b64 s[16:17], exec
	v_mbcnt_lo_u32_b32 v2, s16, 0
	v_mbcnt_hi_u32_b32 v2, s17, v2
	v_cmp_eq_u32_e32 vcc, 0, v2
	s_and_saveexec_b64 s[18:19], vcc
	s_cbranch_execz .LBB8_696
; %bb.695:
	s_bcnt1_i32_b64 s11, s[16:17]
	v_mov_b32_e32 v2, s11
	s_waitcnt vmcnt(0)
	global_atomic_add_x2 v[0:1], v[2:3], off offset:8
.LBB8_696:
	s_or_b64 exec, exec, s[18:19]
	s_waitcnt vmcnt(0)
	global_load_dwordx2 v[2:3], v[0:1], off offset:16
	s_waitcnt vmcnt(0)
	v_cmp_eq_u64_e32 vcc, 0, v[2:3]
	s_cbranch_vccnz .LBB8_698
; %bb.697:
	global_load_dword v0, v[0:1], off offset:24
	v_mov_b32_e32 v1, 0
	s_waitcnt vmcnt(0)
	global_store_dwordx2 v[2:3], v[0:1], off
	v_and_b32_e32 v0, 0xffffff, v0
	v_readfirstlane_b32 m0, v0
	s_sendmsg sendmsg(MSG_INTERRUPT)
.LBB8_698:
	s_or_b64 exec, exec, s[14:15]
	s_branch .LBB8_702
.LBB8_699:                              ;   in Loop: Header=BB8_702 Depth=1
	s_or_b64 exec, exec, s[14:15]
	v_readfirstlane_b32 s11, v0
	s_cmp_eq_u32 s11, 0
	s_cbranch_scc1 .LBB8_701
; %bb.700:                              ;   in Loop: Header=BB8_702 Depth=1
	s_sleep 1
	s_cbranch_execnz .LBB8_702
	s_branch .LBB8_704
.LBB8_701:
	s_branch .LBB8_704
.LBB8_702:                              ; =>This Inner Loop Header: Depth=1
	v_mov_b32_e32 v0, 1
	s_and_saveexec_b64 s[14:15], s[6:7]
	s_cbranch_execz .LBB8_699
; %bb.703:                              ;   in Loop: Header=BB8_702 Depth=1
	global_load_dword v0, v[7:8], off offset:20 glc
	s_waitcnt vmcnt(0)
	buffer_wbinvl1_vol
	v_and_b32_e32 v0, 1, v0
	s_branch .LBB8_699
.LBB8_704:
	global_load_dwordx2 v[0:1], v[9:10], off
	s_and_saveexec_b64 s[14:15], s[6:7]
	s_cbranch_execz .LBB8_707
; %bb.705:
	v_mov_b32_e32 v8, 0
	global_load_dwordx2 v[4:5], v8, s[50:51] offset:40
	global_load_dwordx2 v[9:10], v8, s[50:51] offset:24 glc
	global_load_dwordx2 v[6:7], v8, s[50:51]
	v_mov_b32_e32 v3, s13
	s_mov_b64 s[6:7], 0
	s_waitcnt vmcnt(2)
	v_add_co_u32_e32 v11, vcc, 1, v4
	v_addc_co_u32_e32 v12, vcc, 0, v5, vcc
	v_add_co_u32_e32 v2, vcc, s12, v11
	v_addc_co_u32_e32 v3, vcc, v12, v3, vcc
	v_cmp_eq_u64_e32 vcc, 0, v[2:3]
	v_cndmask_b32_e32 v3, v3, v12, vcc
	v_cndmask_b32_e32 v2, v2, v11, vcc
	v_and_b32_e32 v5, v3, v5
	v_and_b32_e32 v4, v2, v4
	v_mul_lo_u32 v5, v5, 24
	v_mul_hi_u32 v11, v4, 24
	v_mul_lo_u32 v12, v4, 24
	s_waitcnt vmcnt(1)
	v_mov_b32_e32 v4, v9
	v_add_u32_e32 v5, v11, v5
	s_waitcnt vmcnt(0)
	v_add_co_u32_e32 v6, vcc, v6, v12
	v_addc_co_u32_e32 v7, vcc, v7, v5, vcc
	global_store_dwordx2 v[6:7], v[9:10], off
	v_mov_b32_e32 v5, v10
	s_waitcnt vmcnt(0)
	global_atomic_cmpswap_x2 v[4:5], v8, v[2:5], s[50:51] offset:24 glc
	s_waitcnt vmcnt(0)
	v_cmp_ne_u64_e32 vcc, v[4:5], v[9:10]
	s_and_b64 exec, exec, vcc
	s_cbranch_execz .LBB8_707
.LBB8_706:                              ; =>This Inner Loop Header: Depth=1
	s_sleep 1
	global_store_dwordx2 v[6:7], v[4:5], off
	s_waitcnt vmcnt(0)
	global_atomic_cmpswap_x2 v[9:10], v8, v[2:5], s[50:51] offset:24 glc
	s_waitcnt vmcnt(0)
	v_cmp_eq_u64_e32 vcc, v[9:10], v[4:5]
	v_mov_b32_e32 v4, v9
	s_or_b64 s[6:7], vcc, s[6:7]
	v_mov_b32_e32 v5, v10
	s_andn2_b64 exec, exec, s[6:7]
	s_cbranch_execnz .LBB8_706
.LBB8_707:
	s_or_b64 exec, exec, s[14:15]
	s_and_b64 vcc, exec, s[54:55]
	s_cbranch_vccz .LBB8_792
; %bb.708:
	s_waitcnt vmcnt(0)
	v_and_b32_e32 v31, 2, v0
	v_mov_b32_e32 v28, 0
	v_and_b32_e32 v2, -3, v0
	v_mov_b32_e32 v3, v1
	s_mov_b64 s[14:15], 3
	v_mov_b32_e32 v6, 2
	v_mov_b32_e32 v7, 1
	s_getpc_b64 s[12:13]
	s_add_u32 s12, s12, .str.6@rel32@lo+4
	s_addc_u32 s13, s13, .str.6@rel32@hi+12
	s_branch .LBB8_710
.LBB8_709:                              ;   in Loop: Header=BB8_710 Depth=1
	s_or_b64 exec, exec, s[20:21]
	s_sub_u32 s14, s14, s16
	s_subb_u32 s15, s15, s17
	s_add_u32 s12, s12, s16
	s_addc_u32 s13, s13, s17
	s_cmp_lg_u64 s[14:15], 0
	s_cbranch_scc0 .LBB8_791
.LBB8_710:                              ; =>This Loop Header: Depth=1
                                        ;     Child Loop BB8_713 Depth 2
                                        ;     Child Loop BB8_720 Depth 2
	;; [unrolled: 1-line block ×11, first 2 shown]
	v_cmp_lt_u64_e64 s[6:7], s[14:15], 56
	v_cmp_gt_u64_e64 s[18:19], s[14:15], 7
	s_and_b64 s[6:7], s[6:7], exec
	s_cselect_b32 s17, s15, 0
	s_cselect_b32 s16, s14, 56
	s_and_b64 vcc, exec, s[18:19]
	s_cbranch_vccnz .LBB8_715
; %bb.711:                              ;   in Loop: Header=BB8_710 Depth=1
	v_mov_b32_e32 v10, 0
	s_cmp_eq_u64 s[14:15], 0
	v_mov_b32_e32 v11, 0
	s_mov_b64 s[6:7], 0
	s_cbranch_scc1 .LBB8_714
; %bb.712:                              ;   in Loop: Header=BB8_710 Depth=1
	v_mov_b32_e32 v10, 0
	s_lshl_b64 s[18:19], s[16:17], 3
	s_mov_b64 s[20:21], 0
	v_mov_b32_e32 v11, 0
	s_mov_b64 s[22:23], s[12:13]
.LBB8_713:                              ;   Parent Loop BB8_710 Depth=1
                                        ; =>  This Inner Loop Header: Depth=2
	global_load_ubyte v4, v28, s[22:23]
	s_waitcnt vmcnt(0)
	v_and_b32_e32 v27, 0xffff, v4
	v_lshlrev_b64 v[4:5], s20, v[27:28]
	s_add_u32 s20, s20, 8
	s_addc_u32 s21, s21, 0
	s_add_u32 s22, s22, 1
	s_addc_u32 s23, s23, 0
	v_or_b32_e32 v10, v4, v10
	s_cmp_lg_u32 s18, s20
	v_or_b32_e32 v11, v5, v11
	s_cbranch_scc1 .LBB8_713
.LBB8_714:                              ;   in Loop: Header=BB8_710 Depth=1
	s_mov_b32 s11, 0
	s_andn2_b64 vcc, exec, s[6:7]
	s_mov_b64 s[6:7], s[12:13]
	s_cbranch_vccz .LBB8_716
	s_branch .LBB8_717
.LBB8_715:                              ;   in Loop: Header=BB8_710 Depth=1
                                        ; implicit-def: $vgpr10_vgpr11
                                        ; implicit-def: $sgpr11
	s_mov_b64 s[6:7], s[12:13]
.LBB8_716:                              ;   in Loop: Header=BB8_710 Depth=1
	global_load_dwordx2 v[10:11], v28, s[12:13]
	s_add_i32 s11, s16, -8
	s_add_u32 s6, s12, 8
	s_addc_u32 s7, s13, 0
.LBB8_717:                              ;   in Loop: Header=BB8_710 Depth=1
	s_cmp_gt_u32 s11, 7
	s_cbranch_scc1 .LBB8_721
; %bb.718:                              ;   in Loop: Header=BB8_710 Depth=1
	s_cmp_eq_u32 s11, 0
	s_cbranch_scc1 .LBB8_722
; %bb.719:                              ;   in Loop: Header=BB8_710 Depth=1
	v_mov_b32_e32 v12, 0
	s_mov_b64 s[18:19], 0
	v_mov_b32_e32 v13, 0
	s_mov_b64 s[20:21], 0
.LBB8_720:                              ;   Parent Loop BB8_710 Depth=1
                                        ; =>  This Inner Loop Header: Depth=2
	s_add_u32 s22, s6, s20
	s_addc_u32 s23, s7, s21
	global_load_ubyte v4, v28, s[22:23]
	s_add_u32 s20, s20, 1
	s_addc_u32 s21, s21, 0
	s_waitcnt vmcnt(0)
	v_and_b32_e32 v27, 0xffff, v4
	v_lshlrev_b64 v[4:5], s18, v[27:28]
	s_add_u32 s18, s18, 8
	s_addc_u32 s19, s19, 0
	v_or_b32_e32 v12, v4, v12
	s_cmp_lg_u32 s11, s20
	v_or_b32_e32 v13, v5, v13
	s_cbranch_scc1 .LBB8_720
	s_branch .LBB8_723
.LBB8_721:                              ;   in Loop: Header=BB8_710 Depth=1
                                        ; implicit-def: $vgpr12_vgpr13
                                        ; implicit-def: $sgpr22
	s_branch .LBB8_724
.LBB8_722:                              ;   in Loop: Header=BB8_710 Depth=1
	v_mov_b32_e32 v12, 0
	v_mov_b32_e32 v13, 0
.LBB8_723:                              ;   in Loop: Header=BB8_710 Depth=1
	s_mov_b32 s22, 0
	s_cbranch_execnz .LBB8_725
.LBB8_724:                              ;   in Loop: Header=BB8_710 Depth=1
	global_load_dwordx2 v[12:13], v28, s[6:7]
	s_add_i32 s22, s11, -8
	s_add_u32 s6, s6, 8
	s_addc_u32 s7, s7, 0
.LBB8_725:                              ;   in Loop: Header=BB8_710 Depth=1
	s_cmp_gt_u32 s22, 7
	s_cbranch_scc1 .LBB8_729
; %bb.726:                              ;   in Loop: Header=BB8_710 Depth=1
	s_cmp_eq_u32 s22, 0
	s_cbranch_scc1 .LBB8_730
; %bb.727:                              ;   in Loop: Header=BB8_710 Depth=1
	v_mov_b32_e32 v14, 0
	s_mov_b64 s[18:19], 0
	v_mov_b32_e32 v15, 0
	s_mov_b64 s[20:21], 0
.LBB8_728:                              ;   Parent Loop BB8_710 Depth=1
                                        ; =>  This Inner Loop Header: Depth=2
	s_add_u32 s24, s6, s20
	s_addc_u32 s25, s7, s21
	global_load_ubyte v4, v28, s[24:25]
	s_add_u32 s20, s20, 1
	s_addc_u32 s21, s21, 0
	s_waitcnt vmcnt(0)
	v_and_b32_e32 v27, 0xffff, v4
	v_lshlrev_b64 v[4:5], s18, v[27:28]
	s_add_u32 s18, s18, 8
	s_addc_u32 s19, s19, 0
	v_or_b32_e32 v14, v4, v14
	s_cmp_lg_u32 s22, s20
	v_or_b32_e32 v15, v5, v15
	s_cbranch_scc1 .LBB8_728
	s_branch .LBB8_731
.LBB8_729:                              ;   in Loop: Header=BB8_710 Depth=1
                                        ; implicit-def: $sgpr11
	s_branch .LBB8_732
.LBB8_730:                              ;   in Loop: Header=BB8_710 Depth=1
	v_mov_b32_e32 v14, 0
	v_mov_b32_e32 v15, 0
.LBB8_731:                              ;   in Loop: Header=BB8_710 Depth=1
	s_mov_b32 s11, 0
	s_cbranch_execnz .LBB8_733
.LBB8_732:                              ;   in Loop: Header=BB8_710 Depth=1
	global_load_dwordx2 v[14:15], v28, s[6:7]
	s_add_i32 s11, s22, -8
	s_add_u32 s6, s6, 8
	s_addc_u32 s7, s7, 0
.LBB8_733:                              ;   in Loop: Header=BB8_710 Depth=1
	s_cmp_gt_u32 s11, 7
	s_cbranch_scc1 .LBB8_737
; %bb.734:                              ;   in Loop: Header=BB8_710 Depth=1
	s_cmp_eq_u32 s11, 0
	s_cbranch_scc1 .LBB8_738
; %bb.735:                              ;   in Loop: Header=BB8_710 Depth=1
	v_mov_b32_e32 v16, 0
	s_mov_b64 s[18:19], 0
	v_mov_b32_e32 v17, 0
	s_mov_b64 s[20:21], 0
.LBB8_736:                              ;   Parent Loop BB8_710 Depth=1
                                        ; =>  This Inner Loop Header: Depth=2
	s_add_u32 s22, s6, s20
	s_addc_u32 s23, s7, s21
	global_load_ubyte v4, v28, s[22:23]
	s_add_u32 s20, s20, 1
	s_addc_u32 s21, s21, 0
	s_waitcnt vmcnt(0)
	v_and_b32_e32 v27, 0xffff, v4
	v_lshlrev_b64 v[4:5], s18, v[27:28]
	s_add_u32 s18, s18, 8
	s_addc_u32 s19, s19, 0
	v_or_b32_e32 v16, v4, v16
	s_cmp_lg_u32 s11, s20
	v_or_b32_e32 v17, v5, v17
	s_cbranch_scc1 .LBB8_736
	s_branch .LBB8_739
.LBB8_737:                              ;   in Loop: Header=BB8_710 Depth=1
                                        ; implicit-def: $vgpr16_vgpr17
                                        ; implicit-def: $sgpr22
	s_branch .LBB8_740
.LBB8_738:                              ;   in Loop: Header=BB8_710 Depth=1
	v_mov_b32_e32 v16, 0
	v_mov_b32_e32 v17, 0
.LBB8_739:                              ;   in Loop: Header=BB8_710 Depth=1
	s_mov_b32 s22, 0
	s_cbranch_execnz .LBB8_741
.LBB8_740:                              ;   in Loop: Header=BB8_710 Depth=1
	global_load_dwordx2 v[16:17], v28, s[6:7]
	s_add_i32 s22, s11, -8
	s_add_u32 s6, s6, 8
	s_addc_u32 s7, s7, 0
.LBB8_741:                              ;   in Loop: Header=BB8_710 Depth=1
	s_cmp_gt_u32 s22, 7
	s_cbranch_scc1 .LBB8_745
; %bb.742:                              ;   in Loop: Header=BB8_710 Depth=1
	s_cmp_eq_u32 s22, 0
	s_cbranch_scc1 .LBB8_746
; %bb.743:                              ;   in Loop: Header=BB8_710 Depth=1
	v_mov_b32_e32 v18, 0
	s_mov_b64 s[18:19], 0
	v_mov_b32_e32 v19, 0
	s_mov_b64 s[20:21], 0
.LBB8_744:                              ;   Parent Loop BB8_710 Depth=1
                                        ; =>  This Inner Loop Header: Depth=2
	s_add_u32 s24, s6, s20
	s_addc_u32 s25, s7, s21
	global_load_ubyte v4, v28, s[24:25]
	s_add_u32 s20, s20, 1
	s_addc_u32 s21, s21, 0
	s_waitcnt vmcnt(0)
	v_and_b32_e32 v27, 0xffff, v4
	v_lshlrev_b64 v[4:5], s18, v[27:28]
	s_add_u32 s18, s18, 8
	s_addc_u32 s19, s19, 0
	v_or_b32_e32 v18, v4, v18
	s_cmp_lg_u32 s22, s20
	v_or_b32_e32 v19, v5, v19
	s_cbranch_scc1 .LBB8_744
	s_branch .LBB8_747
.LBB8_745:                              ;   in Loop: Header=BB8_710 Depth=1
                                        ; implicit-def: $sgpr11
	s_branch .LBB8_748
.LBB8_746:                              ;   in Loop: Header=BB8_710 Depth=1
	v_mov_b32_e32 v18, 0
	v_mov_b32_e32 v19, 0
.LBB8_747:                              ;   in Loop: Header=BB8_710 Depth=1
	s_mov_b32 s11, 0
	s_cbranch_execnz .LBB8_749
.LBB8_748:                              ;   in Loop: Header=BB8_710 Depth=1
	global_load_dwordx2 v[18:19], v28, s[6:7]
	s_add_i32 s11, s22, -8
	s_add_u32 s6, s6, 8
	s_addc_u32 s7, s7, 0
.LBB8_749:                              ;   in Loop: Header=BB8_710 Depth=1
	s_cmp_gt_u32 s11, 7
	s_cbranch_scc1 .LBB8_753
; %bb.750:                              ;   in Loop: Header=BB8_710 Depth=1
	s_cmp_eq_u32 s11, 0
	s_cbranch_scc1 .LBB8_754
; %bb.751:                              ;   in Loop: Header=BB8_710 Depth=1
	v_mov_b32_e32 v20, 0
	s_mov_b64 s[18:19], 0
	v_mov_b32_e32 v21, 0
	s_mov_b64 s[20:21], 0
.LBB8_752:                              ;   Parent Loop BB8_710 Depth=1
                                        ; =>  This Inner Loop Header: Depth=2
	s_add_u32 s22, s6, s20
	s_addc_u32 s23, s7, s21
	global_load_ubyte v4, v28, s[22:23]
	s_add_u32 s20, s20, 1
	s_addc_u32 s21, s21, 0
	s_waitcnt vmcnt(0)
	v_and_b32_e32 v27, 0xffff, v4
	v_lshlrev_b64 v[4:5], s18, v[27:28]
	s_add_u32 s18, s18, 8
	s_addc_u32 s19, s19, 0
	v_or_b32_e32 v20, v4, v20
	s_cmp_lg_u32 s11, s20
	v_or_b32_e32 v21, v5, v21
	s_cbranch_scc1 .LBB8_752
	s_branch .LBB8_755
.LBB8_753:                              ;   in Loop: Header=BB8_710 Depth=1
                                        ; implicit-def: $vgpr20_vgpr21
                                        ; implicit-def: $sgpr22
	s_branch .LBB8_756
.LBB8_754:                              ;   in Loop: Header=BB8_710 Depth=1
	v_mov_b32_e32 v20, 0
	v_mov_b32_e32 v21, 0
.LBB8_755:                              ;   in Loop: Header=BB8_710 Depth=1
	s_mov_b32 s22, 0
	s_cbranch_execnz .LBB8_757
.LBB8_756:                              ;   in Loop: Header=BB8_710 Depth=1
	global_load_dwordx2 v[20:21], v28, s[6:7]
	s_add_i32 s22, s11, -8
	s_add_u32 s6, s6, 8
	s_addc_u32 s7, s7, 0
.LBB8_757:                              ;   in Loop: Header=BB8_710 Depth=1
	s_cmp_gt_u32 s22, 7
	s_cbranch_scc1 .LBB8_761
; %bb.758:                              ;   in Loop: Header=BB8_710 Depth=1
	s_cmp_eq_u32 s22, 0
	s_cbranch_scc1 .LBB8_762
; %bb.759:                              ;   in Loop: Header=BB8_710 Depth=1
	v_mov_b32_e32 v22, 0
	s_mov_b64 s[18:19], 0
	v_mov_b32_e32 v23, 0
	s_mov_b64 s[20:21], s[6:7]
.LBB8_760:                              ;   Parent Loop BB8_710 Depth=1
                                        ; =>  This Inner Loop Header: Depth=2
	global_load_ubyte v4, v28, s[20:21]
	s_add_i32 s22, s22, -1
	s_waitcnt vmcnt(0)
	v_and_b32_e32 v27, 0xffff, v4
	v_lshlrev_b64 v[4:5], s18, v[27:28]
	s_add_u32 s18, s18, 8
	s_addc_u32 s19, s19, 0
	s_add_u32 s20, s20, 1
	s_addc_u32 s21, s21, 0
	v_or_b32_e32 v22, v4, v22
	s_cmp_lg_u32 s22, 0
	v_or_b32_e32 v23, v5, v23
	s_cbranch_scc1 .LBB8_760
	s_branch .LBB8_763
.LBB8_761:                              ;   in Loop: Header=BB8_710 Depth=1
	s_branch .LBB8_764
.LBB8_762:                              ;   in Loop: Header=BB8_710 Depth=1
	v_mov_b32_e32 v22, 0
	v_mov_b32_e32 v23, 0
.LBB8_763:                              ;   in Loop: Header=BB8_710 Depth=1
	s_cbranch_execnz .LBB8_765
.LBB8_764:                              ;   in Loop: Header=BB8_710 Depth=1
	global_load_dwordx2 v[22:23], v28, s[6:7]
.LBB8_765:                              ;   in Loop: Header=BB8_710 Depth=1
	v_readfirstlane_b32 s6, v43
	s_waitcnt vmcnt(0)
	v_mov_b32_e32 v4, 0
	v_mov_b32_e32 v5, 0
	v_cmp_eq_u32_e64 s[6:7], s6, v43
	s_and_saveexec_b64 s[18:19], s[6:7]
	s_cbranch_execz .LBB8_771
; %bb.766:                              ;   in Loop: Header=BB8_710 Depth=1
	global_load_dwordx2 v[26:27], v28, s[50:51] offset:24 glc
	s_waitcnt vmcnt(0)
	buffer_wbinvl1_vol
	global_load_dwordx2 v[4:5], v28, s[50:51] offset:40
	global_load_dwordx2 v[8:9], v28, s[50:51]
	s_waitcnt vmcnt(1)
	v_and_b32_e32 v4, v4, v26
	v_and_b32_e32 v5, v5, v27
	v_mul_lo_u32 v5, v5, 24
	v_mul_hi_u32 v24, v4, 24
	v_mul_lo_u32 v4, v4, 24
	v_add_u32_e32 v5, v24, v5
	s_waitcnt vmcnt(0)
	v_add_co_u32_e32 v4, vcc, v8, v4
	v_addc_co_u32_e32 v5, vcc, v9, v5, vcc
	global_load_dwordx2 v[24:25], v[4:5], off glc
	s_waitcnt vmcnt(0)
	global_atomic_cmpswap_x2 v[4:5], v28, v[24:27], s[50:51] offset:24 glc
	s_waitcnt vmcnt(0)
	buffer_wbinvl1_vol
	v_cmp_ne_u64_e32 vcc, v[4:5], v[26:27]
	s_and_saveexec_b64 s[20:21], vcc
	s_cbranch_execz .LBB8_770
; %bb.767:                              ;   in Loop: Header=BB8_710 Depth=1
	s_mov_b64 s[22:23], 0
.LBB8_768:                              ;   Parent Loop BB8_710 Depth=1
                                        ; =>  This Inner Loop Header: Depth=2
	s_sleep 1
	global_load_dwordx2 v[8:9], v28, s[50:51] offset:40
	global_load_dwordx2 v[24:25], v28, s[50:51]
	v_mov_b32_e32 v27, v5
	v_mov_b32_e32 v26, v4
	s_waitcnt vmcnt(1)
	v_and_b32_e32 v4, v8, v26
	s_waitcnt vmcnt(0)
	v_mad_u64_u32 v[4:5], s[24:25], v4, 24, v[24:25]
	v_and_b32_e32 v8, v9, v27
	v_mad_u64_u32 v[8:9], s[24:25], v8, 24, v[5:6]
	v_mov_b32_e32 v5, v8
	global_load_dwordx2 v[24:25], v[4:5], off glc
	s_waitcnt vmcnt(0)
	global_atomic_cmpswap_x2 v[4:5], v28, v[24:27], s[50:51] offset:24 glc
	s_waitcnt vmcnt(0)
	buffer_wbinvl1_vol
	v_cmp_eq_u64_e32 vcc, v[4:5], v[26:27]
	s_or_b64 s[22:23], vcc, s[22:23]
	s_andn2_b64 exec, exec, s[22:23]
	s_cbranch_execnz .LBB8_768
; %bb.769:                              ;   in Loop: Header=BB8_710 Depth=1
	s_or_b64 exec, exec, s[22:23]
.LBB8_770:                              ;   in Loop: Header=BB8_710 Depth=1
	s_or_b64 exec, exec, s[20:21]
.LBB8_771:                              ;   in Loop: Header=BB8_710 Depth=1
	s_or_b64 exec, exec, s[18:19]
	global_load_dwordx2 v[8:9], v28, s[50:51] offset:40
	global_load_dwordx4 v[24:27], v28, s[50:51]
	v_readfirstlane_b32 s18, v4
	v_readfirstlane_b32 s19, v5
	s_mov_b64 s[22:23], exec
	s_waitcnt vmcnt(1)
	v_readfirstlane_b32 s20, v8
	v_readfirstlane_b32 s21, v9
	s_and_b64 s[20:21], s[18:19], s[20:21]
	s_mul_i32 s11, s21, 24
	s_mul_hi_u32 s24, s20, 24
	s_mul_i32 s25, s20, 24
	s_add_i32 s11, s24, s11
	v_mov_b32_e32 v4, s11
	s_waitcnt vmcnt(0)
	v_add_co_u32_e32 v29, vcc, s25, v24
	v_addc_co_u32_e32 v30, vcc, v25, v4, vcc
	s_and_saveexec_b64 s[24:25], s[6:7]
	s_cbranch_execz .LBB8_773
; %bb.772:                              ;   in Loop: Header=BB8_710 Depth=1
	v_mov_b32_e32 v4, s22
	v_mov_b32_e32 v5, s23
	global_store_dwordx4 v[29:30], v[4:7], off offset:8
.LBB8_773:                              ;   in Loop: Header=BB8_710 Depth=1
	s_or_b64 exec, exec, s[24:25]
	v_cmp_gt_u64_e64 vcc, s[14:15], 56
	v_or_b32_e32 v4, 0, v3
	v_cndmask_b32_e32 v9, v4, v3, vcc
	v_or_b32_e32 v3, v2, v31
	s_lshl_b32 s11, s16, 2
	v_cndmask_b32_e32 v2, v3, v2, vcc
	s_add_i32 s11, s11, 28
	s_and_b32 s11, s11, 0x1e0
	v_and_b32_e32 v2, 0xffffff1f, v2
	s_lshl_b64 s[20:21], s[20:21], 12
	v_or_b32_e32 v8, s11, v2
	v_mov_b32_e32 v2, s21
	v_add_co_u32_e32 v26, vcc, s20, v26
	v_addc_co_u32_e32 v32, vcc, v27, v2, vcc
	v_readfirstlane_b32 s20, v26
	v_readfirstlane_b32 s21, v32
	s_nop 4
	global_store_dwordx4 v42, v[8:11], s[20:21]
	global_store_dwordx4 v42, v[12:15], s[20:21] offset:16
	global_store_dwordx4 v42, v[16:19], s[20:21] offset:32
	;; [unrolled: 1-line block ×3, first 2 shown]
	s_and_saveexec_b64 s[20:21], s[6:7]
	s_cbranch_execz .LBB8_781
; %bb.774:                              ;   in Loop: Header=BB8_710 Depth=1
	global_load_dwordx2 v[12:13], v28, s[50:51] offset:32 glc
	global_load_dwordx2 v[2:3], v28, s[50:51] offset:40
	v_mov_b32_e32 v10, s18
	v_mov_b32_e32 v11, s19
	s_waitcnt vmcnt(0)
	v_readfirstlane_b32 s22, v2
	v_readfirstlane_b32 s23, v3
	s_and_b64 s[22:23], s[22:23], s[18:19]
	s_mul_i32 s11, s23, 24
	s_mul_hi_u32 s23, s22, 24
	s_mul_i32 s22, s22, 24
	s_add_i32 s11, s23, s11
	v_mov_b32_e32 v2, s11
	v_add_co_u32_e32 v8, vcc, s22, v24
	v_addc_co_u32_e32 v9, vcc, v25, v2, vcc
	global_store_dwordx2 v[8:9], v[12:13], off
	s_waitcnt vmcnt(0)
	global_atomic_cmpswap_x2 v[4:5], v28, v[10:13], s[50:51] offset:32 glc
	s_waitcnt vmcnt(0)
	v_cmp_ne_u64_e32 vcc, v[4:5], v[12:13]
	s_and_saveexec_b64 s[22:23], vcc
	s_cbranch_execz .LBB8_777
; %bb.775:                              ;   in Loop: Header=BB8_710 Depth=1
	s_mov_b64 s[24:25], 0
.LBB8_776:                              ;   Parent Loop BB8_710 Depth=1
                                        ; =>  This Inner Loop Header: Depth=2
	s_sleep 1
	global_store_dwordx2 v[8:9], v[4:5], off
	v_mov_b32_e32 v2, s18
	v_mov_b32_e32 v3, s19
	s_waitcnt vmcnt(0)
	global_atomic_cmpswap_x2 v[2:3], v28, v[2:5], s[50:51] offset:32 glc
	s_waitcnt vmcnt(0)
	v_cmp_eq_u64_e32 vcc, v[2:3], v[4:5]
	v_mov_b32_e32 v5, v3
	s_or_b64 s[24:25], vcc, s[24:25]
	v_mov_b32_e32 v4, v2
	s_andn2_b64 exec, exec, s[24:25]
	s_cbranch_execnz .LBB8_776
.LBB8_777:                              ;   in Loop: Header=BB8_710 Depth=1
	s_or_b64 exec, exec, s[22:23]
	global_load_dwordx2 v[2:3], v28, s[50:51] offset:16
	s_mov_b64 s[24:25], exec
	v_mbcnt_lo_u32_b32 v4, s24, 0
	v_mbcnt_hi_u32_b32 v4, s25, v4
	v_cmp_eq_u32_e32 vcc, 0, v4
	s_and_saveexec_b64 s[22:23], vcc
	s_cbranch_execz .LBB8_779
; %bb.778:                              ;   in Loop: Header=BB8_710 Depth=1
	s_bcnt1_i32_b64 s11, s[24:25]
	v_mov_b32_e32 v27, s11
	s_waitcnt vmcnt(0)
	global_atomic_add_x2 v[2:3], v[27:28], off offset:8
.LBB8_779:                              ;   in Loop: Header=BB8_710 Depth=1
	s_or_b64 exec, exec, s[22:23]
	s_waitcnt vmcnt(0)
	global_load_dwordx2 v[4:5], v[2:3], off offset:16
	s_waitcnt vmcnt(0)
	v_cmp_eq_u64_e32 vcc, 0, v[4:5]
	s_cbranch_vccnz .LBB8_781
; %bb.780:                              ;   in Loop: Header=BB8_710 Depth=1
	global_load_dword v27, v[2:3], off offset:24
	s_waitcnt vmcnt(0)
	v_and_b32_e32 v2, 0xffffff, v27
	v_readfirstlane_b32 m0, v2
	global_store_dwordx2 v[4:5], v[27:28], off
	s_sendmsg sendmsg(MSG_INTERRUPT)
.LBB8_781:                              ;   in Loop: Header=BB8_710 Depth=1
	s_or_b64 exec, exec, s[20:21]
	v_add_co_u32_e32 v2, vcc, v26, v42
	v_addc_co_u32_e32 v3, vcc, 0, v32, vcc
	s_branch .LBB8_785
.LBB8_782:                              ;   in Loop: Header=BB8_785 Depth=2
	s_or_b64 exec, exec, s[20:21]
	v_readfirstlane_b32 s11, v4
	s_cmp_eq_u32 s11, 0
	s_cbranch_scc1 .LBB8_784
; %bb.783:                              ;   in Loop: Header=BB8_785 Depth=2
	s_sleep 1
	s_cbranch_execnz .LBB8_785
	s_branch .LBB8_787
.LBB8_784:                              ;   in Loop: Header=BB8_710 Depth=1
	s_branch .LBB8_787
.LBB8_785:                              ;   Parent Loop BB8_710 Depth=1
                                        ; =>  This Inner Loop Header: Depth=2
	v_mov_b32_e32 v4, 1
	s_and_saveexec_b64 s[20:21], s[6:7]
	s_cbranch_execz .LBB8_782
; %bb.786:                              ;   in Loop: Header=BB8_785 Depth=2
	global_load_dword v4, v[29:30], off offset:20 glc
	s_waitcnt vmcnt(0)
	buffer_wbinvl1_vol
	v_and_b32_e32 v4, 1, v4
	s_branch .LBB8_782
.LBB8_787:                              ;   in Loop: Header=BB8_710 Depth=1
	global_load_dwordx4 v[2:5], v[2:3], off
	s_and_saveexec_b64 s[20:21], s[6:7]
	s_cbranch_execz .LBB8_709
; %bb.788:                              ;   in Loop: Header=BB8_710 Depth=1
	global_load_dwordx2 v[4:5], v28, s[50:51] offset:40
	global_load_dwordx2 v[12:13], v28, s[50:51] offset:24 glc
	global_load_dwordx2 v[14:15], v28, s[50:51]
	v_mov_b32_e32 v9, s19
	s_waitcnt vmcnt(2)
	v_add_co_u32_e32 v10, vcc, 1, v4
	v_addc_co_u32_e32 v11, vcc, 0, v5, vcc
	v_add_co_u32_e32 v8, vcc, s18, v10
	v_addc_co_u32_e32 v9, vcc, v11, v9, vcc
	v_cmp_eq_u64_e32 vcc, 0, v[8:9]
	v_cndmask_b32_e32 v9, v9, v11, vcc
	v_cndmask_b32_e32 v8, v8, v10, vcc
	v_and_b32_e32 v5, v9, v5
	v_and_b32_e32 v4, v8, v4
	v_mul_lo_u32 v5, v5, 24
	v_mul_hi_u32 v11, v4, 24
	v_mul_lo_u32 v4, v4, 24
	s_waitcnt vmcnt(1)
	v_mov_b32_e32 v10, v12
	v_add_u32_e32 v5, v11, v5
	s_waitcnt vmcnt(0)
	v_add_co_u32_e32 v4, vcc, v14, v4
	v_addc_co_u32_e32 v5, vcc, v15, v5, vcc
	global_store_dwordx2 v[4:5], v[12:13], off
	v_mov_b32_e32 v11, v13
	s_waitcnt vmcnt(0)
	global_atomic_cmpswap_x2 v[10:11], v28, v[8:11], s[50:51] offset:24 glc
	s_waitcnt vmcnt(0)
	v_cmp_ne_u64_e32 vcc, v[10:11], v[12:13]
	s_and_b64 exec, exec, vcc
	s_cbranch_execz .LBB8_709
; %bb.789:                              ;   in Loop: Header=BB8_710 Depth=1
	s_mov_b64 s[6:7], 0
.LBB8_790:                              ;   Parent Loop BB8_710 Depth=1
                                        ; =>  This Inner Loop Header: Depth=2
	s_sleep 1
	global_store_dwordx2 v[4:5], v[10:11], off
	s_waitcnt vmcnt(0)
	global_atomic_cmpswap_x2 v[12:13], v28, v[8:11], s[50:51] offset:24 glc
	s_waitcnt vmcnt(0)
	v_cmp_eq_u64_e32 vcc, v[12:13], v[10:11]
	v_mov_b32_e32 v10, v12
	s_or_b64 s[6:7], vcc, s[6:7]
	v_mov_b32_e32 v11, v13
	s_andn2_b64 exec, exec, s[6:7]
	s_cbranch_execnz .LBB8_790
	s_branch .LBB8_709
.LBB8_791:
	s_mov_b64 s[6:7], 0
	s_branch .LBB8_793
.LBB8_792:
	s_mov_b64 s[6:7], -1
                                        ; implicit-def: $vgpr2_vgpr3
.LBB8_793:
	s_and_b64 vcc, exec, s[6:7]
	s_cbranch_vccz .LBB8_820
; %bb.794:
	v_readfirstlane_b32 s6, v43
	v_mov_b32_e32 v8, 0
	v_mov_b32_e32 v9, 0
	v_cmp_eq_u32_e64 s[6:7], s6, v43
	s_and_saveexec_b64 s[12:13], s[6:7]
	s_cbranch_execz .LBB8_800
; %bb.795:
	s_waitcnt vmcnt(0)
	v_mov_b32_e32 v2, 0
	global_load_dwordx2 v[5:6], v2, s[50:51] offset:24 glc
	s_waitcnt vmcnt(0)
	buffer_wbinvl1_vol
	global_load_dwordx2 v[3:4], v2, s[50:51] offset:40
	global_load_dwordx2 v[7:8], v2, s[50:51]
	s_waitcnt vmcnt(1)
	v_and_b32_e32 v3, v3, v5
	v_and_b32_e32 v4, v4, v6
	v_mul_lo_u32 v4, v4, 24
	v_mul_hi_u32 v9, v3, 24
	v_mul_lo_u32 v3, v3, 24
	v_add_u32_e32 v4, v9, v4
	s_waitcnt vmcnt(0)
	v_add_co_u32_e32 v3, vcc, v7, v3
	v_addc_co_u32_e32 v4, vcc, v8, v4, vcc
	global_load_dwordx2 v[3:4], v[3:4], off glc
	s_waitcnt vmcnt(0)
	global_atomic_cmpswap_x2 v[8:9], v2, v[3:6], s[50:51] offset:24 glc
	s_waitcnt vmcnt(0)
	buffer_wbinvl1_vol
	v_cmp_ne_u64_e32 vcc, v[8:9], v[5:6]
	s_and_saveexec_b64 s[14:15], vcc
	s_cbranch_execz .LBB8_799
; %bb.796:
	s_mov_b64 s[16:17], 0
.LBB8_797:                              ; =>This Inner Loop Header: Depth=1
	s_sleep 1
	global_load_dwordx2 v[3:4], v2, s[50:51] offset:40
	global_load_dwordx2 v[10:11], v2, s[50:51]
	v_mov_b32_e32 v5, v8
	v_mov_b32_e32 v6, v9
	s_waitcnt vmcnt(1)
	v_and_b32_e32 v3, v3, v5
	s_waitcnt vmcnt(0)
	v_mad_u64_u32 v[7:8], s[18:19], v3, 24, v[10:11]
	v_and_b32_e32 v4, v4, v6
	v_mov_b32_e32 v3, v8
	v_mad_u64_u32 v[3:4], s[18:19], v4, 24, v[3:4]
	v_mov_b32_e32 v8, v3
	global_load_dwordx2 v[3:4], v[7:8], off glc
	s_waitcnt vmcnt(0)
	global_atomic_cmpswap_x2 v[8:9], v2, v[3:6], s[50:51] offset:24 glc
	s_waitcnt vmcnt(0)
	buffer_wbinvl1_vol
	v_cmp_eq_u64_e32 vcc, v[8:9], v[5:6]
	s_or_b64 s[16:17], vcc, s[16:17]
	s_andn2_b64 exec, exec, s[16:17]
	s_cbranch_execnz .LBB8_797
; %bb.798:
	s_or_b64 exec, exec, s[16:17]
.LBB8_799:
	s_or_b64 exec, exec, s[14:15]
.LBB8_800:
	s_or_b64 exec, exec, s[12:13]
	s_waitcnt vmcnt(0)
	v_mov_b32_e32 v2, 0
	global_load_dwordx2 v[10:11], v2, s[50:51] offset:40
	global_load_dwordx4 v[4:7], v2, s[50:51]
	v_readfirstlane_b32 s12, v8
	v_readfirstlane_b32 s13, v9
	s_mov_b64 s[14:15], exec
	s_waitcnt vmcnt(1)
	v_readfirstlane_b32 s16, v10
	v_readfirstlane_b32 s17, v11
	s_and_b64 s[16:17], s[12:13], s[16:17]
	s_mul_i32 s11, s17, 24
	s_mul_hi_u32 s18, s16, 24
	s_mul_i32 s19, s16, 24
	s_add_i32 s11, s18, s11
	v_mov_b32_e32 v3, s11
	s_waitcnt vmcnt(0)
	v_add_co_u32_e32 v8, vcc, s19, v4
	v_addc_co_u32_e32 v9, vcc, v5, v3, vcc
	s_and_saveexec_b64 s[18:19], s[6:7]
	s_cbranch_execz .LBB8_802
; %bb.801:
	v_mov_b32_e32 v10, s14
	v_mov_b32_e32 v11, s15
	;; [unrolled: 1-line block ×4, first 2 shown]
	global_store_dwordx4 v[8:9], v[10:13], off offset:8
.LBB8_802:
	s_or_b64 exec, exec, s[18:19]
	s_lshl_b64 s[14:15], s[16:17], 12
	v_mov_b32_e32 v3, s15
	v_add_co_u32_e32 v10, vcc, s14, v6
	v_addc_co_u32_e32 v11, vcc, v7, v3, vcc
	s_movk_i32 s11, 0xff1f
	v_and_or_b32 v0, v0, s11, 32
	s_mov_b32 s16, 0
	v_mov_b32_e32 v3, v2
	v_readfirstlane_b32 s14, v10
	v_readfirstlane_b32 s15, v11
	v_add_co_u32_e32 v6, vcc, v10, v42
	s_mov_b32 s17, s16
	s_mov_b32 s18, s16
	;; [unrolled: 1-line block ×3, first 2 shown]
	s_nop 0
	global_store_dwordx4 v42, v[0:3], s[14:15]
	v_addc_co_u32_e32 v7, vcc, 0, v11, vcc
	v_mov_b32_e32 v0, s16
	v_mov_b32_e32 v1, s17
	;; [unrolled: 1-line block ×4, first 2 shown]
	global_store_dwordx4 v42, v[0:3], s[14:15] offset:16
	global_store_dwordx4 v42, v[0:3], s[14:15] offset:32
	;; [unrolled: 1-line block ×3, first 2 shown]
	s_and_saveexec_b64 s[14:15], s[6:7]
	s_cbranch_execz .LBB8_810
; %bb.803:
	v_mov_b32_e32 v10, 0
	global_load_dwordx2 v[13:14], v10, s[50:51] offset:32 glc
	global_load_dwordx2 v[0:1], v10, s[50:51] offset:40
	v_mov_b32_e32 v11, s12
	v_mov_b32_e32 v12, s13
	s_waitcnt vmcnt(0)
	v_readfirstlane_b32 s16, v0
	v_readfirstlane_b32 s17, v1
	s_and_b64 s[16:17], s[16:17], s[12:13]
	s_mul_i32 s11, s17, 24
	s_mul_hi_u32 s17, s16, 24
	s_mul_i32 s16, s16, 24
	s_add_i32 s11, s17, s11
	v_mov_b32_e32 v0, s11
	v_add_co_u32_e32 v4, vcc, s16, v4
	v_addc_co_u32_e32 v5, vcc, v5, v0, vcc
	global_store_dwordx2 v[4:5], v[13:14], off
	s_waitcnt vmcnt(0)
	global_atomic_cmpswap_x2 v[2:3], v10, v[11:14], s[50:51] offset:32 glc
	s_waitcnt vmcnt(0)
	v_cmp_ne_u64_e32 vcc, v[2:3], v[13:14]
	s_and_saveexec_b64 s[16:17], vcc
	s_cbranch_execz .LBB8_806
; %bb.804:
	s_mov_b64 s[18:19], 0
.LBB8_805:                              ; =>This Inner Loop Header: Depth=1
	s_sleep 1
	global_store_dwordx2 v[4:5], v[2:3], off
	v_mov_b32_e32 v0, s12
	v_mov_b32_e32 v1, s13
	s_waitcnt vmcnt(0)
	global_atomic_cmpswap_x2 v[0:1], v10, v[0:3], s[50:51] offset:32 glc
	s_waitcnt vmcnt(0)
	v_cmp_eq_u64_e32 vcc, v[0:1], v[2:3]
	v_mov_b32_e32 v3, v1
	s_or_b64 s[18:19], vcc, s[18:19]
	v_mov_b32_e32 v2, v0
	s_andn2_b64 exec, exec, s[18:19]
	s_cbranch_execnz .LBB8_805
.LBB8_806:
	s_or_b64 exec, exec, s[16:17]
	v_mov_b32_e32 v3, 0
	global_load_dwordx2 v[0:1], v3, s[50:51] offset:16
	s_mov_b64 s[16:17], exec
	v_mbcnt_lo_u32_b32 v2, s16, 0
	v_mbcnt_hi_u32_b32 v2, s17, v2
	v_cmp_eq_u32_e32 vcc, 0, v2
	s_and_saveexec_b64 s[18:19], vcc
	s_cbranch_execz .LBB8_808
; %bb.807:
	s_bcnt1_i32_b64 s11, s[16:17]
	v_mov_b32_e32 v2, s11
	s_waitcnt vmcnt(0)
	global_atomic_add_x2 v[0:1], v[2:3], off offset:8
.LBB8_808:
	s_or_b64 exec, exec, s[18:19]
	s_waitcnt vmcnt(0)
	global_load_dwordx2 v[2:3], v[0:1], off offset:16
	s_waitcnt vmcnt(0)
	v_cmp_eq_u64_e32 vcc, 0, v[2:3]
	s_cbranch_vccnz .LBB8_810
; %bb.809:
	global_load_dword v0, v[0:1], off offset:24
	v_mov_b32_e32 v1, 0
	s_waitcnt vmcnt(0)
	global_store_dwordx2 v[2:3], v[0:1], off
	v_and_b32_e32 v0, 0xffffff, v0
	v_readfirstlane_b32 m0, v0
	s_sendmsg sendmsg(MSG_INTERRUPT)
.LBB8_810:
	s_or_b64 exec, exec, s[14:15]
	s_branch .LBB8_814
.LBB8_811:                              ;   in Loop: Header=BB8_814 Depth=1
	s_or_b64 exec, exec, s[14:15]
	v_readfirstlane_b32 s11, v0
	s_cmp_eq_u32 s11, 0
	s_cbranch_scc1 .LBB8_813
; %bb.812:                              ;   in Loop: Header=BB8_814 Depth=1
	s_sleep 1
	s_cbranch_execnz .LBB8_814
	s_branch .LBB8_816
.LBB8_813:
	s_branch .LBB8_816
.LBB8_814:                              ; =>This Inner Loop Header: Depth=1
	v_mov_b32_e32 v0, 1
	s_and_saveexec_b64 s[14:15], s[6:7]
	s_cbranch_execz .LBB8_811
; %bb.815:                              ;   in Loop: Header=BB8_814 Depth=1
	global_load_dword v0, v[8:9], off offset:20 glc
	s_waitcnt vmcnt(0)
	buffer_wbinvl1_vol
	v_and_b32_e32 v0, 1, v0
	s_branch .LBB8_811
.LBB8_816:
	global_load_dwordx2 v[2:3], v[6:7], off
	s_and_saveexec_b64 s[14:15], s[6:7]
	s_cbranch_execz .LBB8_819
; %bb.817:
	v_mov_b32_e32 v8, 0
	global_load_dwordx2 v[0:1], v8, s[50:51] offset:40
	global_load_dwordx2 v[9:10], v8, s[50:51] offset:24 glc
	global_load_dwordx2 v[11:12], v8, s[50:51]
	v_mov_b32_e32 v5, s13
	s_mov_b64 s[6:7], 0
	s_waitcnt vmcnt(2)
	v_add_co_u32_e32 v6, vcc, 1, v0
	v_addc_co_u32_e32 v7, vcc, 0, v1, vcc
	v_add_co_u32_e32 v4, vcc, s12, v6
	v_addc_co_u32_e32 v5, vcc, v7, v5, vcc
	v_cmp_eq_u64_e32 vcc, 0, v[4:5]
	v_cndmask_b32_e32 v5, v5, v7, vcc
	v_cndmask_b32_e32 v4, v4, v6, vcc
	v_and_b32_e32 v1, v5, v1
	v_and_b32_e32 v0, v4, v0
	v_mul_lo_u32 v1, v1, 24
	v_mul_hi_u32 v7, v0, 24
	v_mul_lo_u32 v0, v0, 24
	s_waitcnt vmcnt(1)
	v_mov_b32_e32 v6, v9
	v_add_u32_e32 v1, v7, v1
	s_waitcnt vmcnt(0)
	v_add_co_u32_e32 v0, vcc, v11, v0
	v_addc_co_u32_e32 v1, vcc, v12, v1, vcc
	global_store_dwordx2 v[0:1], v[9:10], off
	v_mov_b32_e32 v7, v10
	s_waitcnt vmcnt(0)
	global_atomic_cmpswap_x2 v[6:7], v8, v[4:7], s[50:51] offset:24 glc
	s_waitcnt vmcnt(0)
	v_cmp_ne_u64_e32 vcc, v[6:7], v[9:10]
	s_and_b64 exec, exec, vcc
	s_cbranch_execz .LBB8_819
.LBB8_818:                              ; =>This Inner Loop Header: Depth=1
	s_sleep 1
	global_store_dwordx2 v[0:1], v[6:7], off
	s_waitcnt vmcnt(0)
	global_atomic_cmpswap_x2 v[9:10], v8, v[4:7], s[50:51] offset:24 glc
	s_waitcnt vmcnt(0)
	v_cmp_eq_u64_e32 vcc, v[9:10], v[6:7]
	v_mov_b32_e32 v6, v9
	s_or_b64 s[6:7], vcc, s[6:7]
	v_mov_b32_e32 v7, v10
	s_andn2_b64 exec, exec, s[6:7]
	s_cbranch_execnz .LBB8_818
.LBB8_819:
	s_or_b64 exec, exec, s[14:15]
.LBB8_820:
	v_readfirstlane_b32 s6, v43
	s_waitcnt vmcnt(0)
	v_mov_b32_e32 v0, 0
	v_mov_b32_e32 v1, 0
	v_cmp_eq_u32_e64 s[6:7], s6, v43
	s_and_saveexec_b64 s[12:13], s[6:7]
	s_cbranch_execz .LBB8_826
; %bb.821:
	v_mov_b32_e32 v4, 0
	global_load_dwordx2 v[7:8], v4, s[50:51] offset:24 glc
	s_waitcnt vmcnt(0)
	buffer_wbinvl1_vol
	global_load_dwordx2 v[0:1], v4, s[50:51] offset:40
	global_load_dwordx2 v[5:6], v4, s[50:51]
	s_waitcnt vmcnt(1)
	v_and_b32_e32 v0, v0, v7
	v_and_b32_e32 v1, v1, v8
	v_mul_lo_u32 v1, v1, 24
	v_mul_hi_u32 v9, v0, 24
	v_mul_lo_u32 v0, v0, 24
	v_add_u32_e32 v1, v9, v1
	s_waitcnt vmcnt(0)
	v_add_co_u32_e32 v0, vcc, v5, v0
	v_addc_co_u32_e32 v1, vcc, v6, v1, vcc
	global_load_dwordx2 v[5:6], v[0:1], off glc
	s_waitcnt vmcnt(0)
	global_atomic_cmpswap_x2 v[0:1], v4, v[5:8], s[50:51] offset:24 glc
	s_waitcnt vmcnt(0)
	buffer_wbinvl1_vol
	v_cmp_ne_u64_e32 vcc, v[0:1], v[7:8]
	s_and_saveexec_b64 s[14:15], vcc
	s_cbranch_execz .LBB8_825
; %bb.822:
	s_mov_b64 s[16:17], 0
.LBB8_823:                              ; =>This Inner Loop Header: Depth=1
	s_sleep 1
	global_load_dwordx2 v[5:6], v4, s[50:51] offset:40
	global_load_dwordx2 v[9:10], v4, s[50:51]
	v_mov_b32_e32 v8, v1
	v_mov_b32_e32 v7, v0
	s_waitcnt vmcnt(1)
	v_and_b32_e32 v0, v5, v7
	s_waitcnt vmcnt(0)
	v_mad_u64_u32 v[0:1], s[18:19], v0, 24, v[9:10]
	v_and_b32_e32 v5, v6, v8
	v_mad_u64_u32 v[5:6], s[18:19], v5, 24, v[1:2]
	v_mov_b32_e32 v1, v5
	global_load_dwordx2 v[5:6], v[0:1], off glc
	s_waitcnt vmcnt(0)
	global_atomic_cmpswap_x2 v[0:1], v4, v[5:8], s[50:51] offset:24 glc
	s_waitcnt vmcnt(0)
	buffer_wbinvl1_vol
	v_cmp_eq_u64_e32 vcc, v[0:1], v[7:8]
	s_or_b64 s[16:17], vcc, s[16:17]
	s_andn2_b64 exec, exec, s[16:17]
	s_cbranch_execnz .LBB8_823
; %bb.824:
	s_or_b64 exec, exec, s[16:17]
.LBB8_825:
	s_or_b64 exec, exec, s[14:15]
.LBB8_826:
	s_or_b64 exec, exec, s[12:13]
	v_mov_b32_e32 v5, 0
	global_load_dwordx2 v[10:11], v5, s[50:51] offset:40
	global_load_dwordx4 v[6:9], v5, s[50:51]
	v_readfirstlane_b32 s12, v0
	v_readfirstlane_b32 s13, v1
	s_mov_b64 s[14:15], exec
	s_waitcnt vmcnt(1)
	v_readfirstlane_b32 s16, v10
	v_readfirstlane_b32 s17, v11
	s_and_b64 s[16:17], s[12:13], s[16:17]
	s_mul_i32 s11, s17, 24
	s_mul_hi_u32 s18, s16, 24
	s_mul_i32 s19, s16, 24
	s_add_i32 s11, s18, s11
	v_mov_b32_e32 v0, s11
	s_waitcnt vmcnt(0)
	v_add_co_u32_e32 v10, vcc, s19, v6
	v_addc_co_u32_e32 v11, vcc, v7, v0, vcc
	s_and_saveexec_b64 s[18:19], s[6:7]
	s_cbranch_execz .LBB8_828
; %bb.827:
	v_mov_b32_e32 v12, s14
	v_mov_b32_e32 v13, s15
	v_mov_b32_e32 v14, 2
	v_mov_b32_e32 v15, 1
	global_store_dwordx4 v[10:11], v[12:15], off offset:8
.LBB8_828:
	s_or_b64 exec, exec, s[18:19]
	s_lshl_b64 s[14:15], s[16:17], 12
	v_mov_b32_e32 v0, s15
	v_add_co_u32_e32 v1, vcc, s14, v8
	v_addc_co_u32_e32 v0, vcc, v9, v0, vcc
	s_movk_i32 s11, 0xff1d
	v_and_or_b32 v2, v2, s11, 34
	s_mov_b32 s16, 0
	v_mov_b32_e32 v4, 58
	v_readfirstlane_b32 s14, v1
	v_readfirstlane_b32 s15, v0
	s_mov_b32 s17, s16
	s_mov_b32 s18, s16
	;; [unrolled: 1-line block ×3, first 2 shown]
	s_nop 1
	global_store_dwordx4 v42, v[2:5], s[14:15]
	v_mov_b32_e32 v0, s16
	v_mov_b32_e32 v1, s17
	;; [unrolled: 1-line block ×4, first 2 shown]
	global_store_dwordx4 v42, v[0:3], s[14:15] offset:16
	global_store_dwordx4 v42, v[0:3], s[14:15] offset:32
	;; [unrolled: 1-line block ×3, first 2 shown]
	s_and_saveexec_b64 s[14:15], s[6:7]
	s_cbranch_execz .LBB8_836
; %bb.829:
	v_mov_b32_e32 v8, 0
	global_load_dwordx2 v[14:15], v8, s[50:51] offset:32 glc
	global_load_dwordx2 v[0:1], v8, s[50:51] offset:40
	v_mov_b32_e32 v12, s12
	v_mov_b32_e32 v13, s13
	s_waitcnt vmcnt(0)
	v_readfirstlane_b32 s16, v0
	v_readfirstlane_b32 s17, v1
	s_and_b64 s[16:17], s[16:17], s[12:13]
	s_mul_i32 s11, s17, 24
	s_mul_hi_u32 s17, s16, 24
	s_mul_i32 s16, s16, 24
	s_add_i32 s11, s17, s11
	v_mov_b32_e32 v0, s11
	v_add_co_u32_e32 v4, vcc, s16, v6
	v_addc_co_u32_e32 v5, vcc, v7, v0, vcc
	global_store_dwordx2 v[4:5], v[14:15], off
	s_waitcnt vmcnt(0)
	global_atomic_cmpswap_x2 v[2:3], v8, v[12:15], s[50:51] offset:32 glc
	s_waitcnt vmcnt(0)
	v_cmp_ne_u64_e32 vcc, v[2:3], v[14:15]
	s_and_saveexec_b64 s[16:17], vcc
	s_cbranch_execz .LBB8_832
; %bb.830:
	s_mov_b64 s[18:19], 0
.LBB8_831:                              ; =>This Inner Loop Header: Depth=1
	s_sleep 1
	global_store_dwordx2 v[4:5], v[2:3], off
	v_mov_b32_e32 v0, s12
	v_mov_b32_e32 v1, s13
	s_waitcnt vmcnt(0)
	global_atomic_cmpswap_x2 v[0:1], v8, v[0:3], s[50:51] offset:32 glc
	s_waitcnt vmcnt(0)
	v_cmp_eq_u64_e32 vcc, v[0:1], v[2:3]
	v_mov_b32_e32 v3, v1
	s_or_b64 s[18:19], vcc, s[18:19]
	v_mov_b32_e32 v2, v0
	s_andn2_b64 exec, exec, s[18:19]
	s_cbranch_execnz .LBB8_831
.LBB8_832:
	s_or_b64 exec, exec, s[16:17]
	v_mov_b32_e32 v3, 0
	global_load_dwordx2 v[0:1], v3, s[50:51] offset:16
	s_mov_b64 s[16:17], exec
	v_mbcnt_lo_u32_b32 v2, s16, 0
	v_mbcnt_hi_u32_b32 v2, s17, v2
	v_cmp_eq_u32_e32 vcc, 0, v2
	s_and_saveexec_b64 s[18:19], vcc
	s_cbranch_execz .LBB8_834
; %bb.833:
	s_bcnt1_i32_b64 s11, s[16:17]
	v_mov_b32_e32 v2, s11
	s_waitcnt vmcnt(0)
	global_atomic_add_x2 v[0:1], v[2:3], off offset:8
.LBB8_834:
	s_or_b64 exec, exec, s[18:19]
	s_waitcnt vmcnt(0)
	global_load_dwordx2 v[2:3], v[0:1], off offset:16
	s_waitcnt vmcnt(0)
	v_cmp_eq_u64_e32 vcc, 0, v[2:3]
	s_cbranch_vccnz .LBB8_836
; %bb.835:
	global_load_dword v0, v[0:1], off offset:24
	v_mov_b32_e32 v1, 0
	s_waitcnt vmcnt(0)
	global_store_dwordx2 v[2:3], v[0:1], off
	v_and_b32_e32 v0, 0xffffff, v0
	v_readfirstlane_b32 m0, v0
	s_sendmsg sendmsg(MSG_INTERRUPT)
.LBB8_836:
	s_or_b64 exec, exec, s[14:15]
	s_branch .LBB8_840
.LBB8_837:                              ;   in Loop: Header=BB8_840 Depth=1
	s_or_b64 exec, exec, s[14:15]
	v_readfirstlane_b32 s11, v0
	s_cmp_eq_u32 s11, 0
	s_cbranch_scc1 .LBB8_839
; %bb.838:                              ;   in Loop: Header=BB8_840 Depth=1
	s_sleep 1
	s_cbranch_execnz .LBB8_840
	s_branch .LBB8_842
.LBB8_839:
	s_branch .LBB8_842
.LBB8_840:                              ; =>This Inner Loop Header: Depth=1
	v_mov_b32_e32 v0, 1
	s_and_saveexec_b64 s[14:15], s[6:7]
	s_cbranch_execz .LBB8_837
; %bb.841:                              ;   in Loop: Header=BB8_840 Depth=1
	global_load_dword v0, v[10:11], off offset:20 glc
	s_waitcnt vmcnt(0)
	buffer_wbinvl1_vol
	v_and_b32_e32 v0, 1, v0
	s_branch .LBB8_837
.LBB8_842:
	s_and_saveexec_b64 s[14:15], s[6:7]
	s_cbranch_execz .LBB8_845
; %bb.843:
	v_mov_b32_e32 v6, 0
	global_load_dwordx2 v[2:3], v6, s[50:51] offset:40
	global_load_dwordx2 v[7:8], v6, s[50:51] offset:24 glc
	global_load_dwordx2 v[4:5], v6, s[50:51]
	v_mov_b32_e32 v1, s13
	s_mov_b64 s[6:7], 0
	s_waitcnt vmcnt(2)
	v_add_co_u32_e32 v9, vcc, 1, v2
	v_addc_co_u32_e32 v10, vcc, 0, v3, vcc
	v_add_co_u32_e32 v0, vcc, s12, v9
	v_addc_co_u32_e32 v1, vcc, v10, v1, vcc
	v_cmp_eq_u64_e32 vcc, 0, v[0:1]
	v_cndmask_b32_e32 v1, v1, v10, vcc
	v_cndmask_b32_e32 v0, v0, v9, vcc
	v_and_b32_e32 v3, v1, v3
	v_and_b32_e32 v2, v0, v2
	v_mul_lo_u32 v3, v3, 24
	v_mul_hi_u32 v9, v2, 24
	v_mul_lo_u32 v10, v2, 24
	s_waitcnt vmcnt(1)
	v_mov_b32_e32 v2, v7
	v_add_u32_e32 v3, v9, v3
	s_waitcnt vmcnt(0)
	v_add_co_u32_e32 v4, vcc, v4, v10
	v_addc_co_u32_e32 v5, vcc, v5, v3, vcc
	global_store_dwordx2 v[4:5], v[7:8], off
	v_mov_b32_e32 v3, v8
	s_waitcnt vmcnt(0)
	global_atomic_cmpswap_x2 v[2:3], v6, v[0:3], s[50:51] offset:24 glc
	s_waitcnt vmcnt(0)
	v_cmp_ne_u64_e32 vcc, v[2:3], v[7:8]
	s_and_b64 exec, exec, vcc
	s_cbranch_execz .LBB8_845
.LBB8_844:                              ; =>This Inner Loop Header: Depth=1
	s_sleep 1
	global_store_dwordx2 v[4:5], v[2:3], off
	s_waitcnt vmcnt(0)
	global_atomic_cmpswap_x2 v[7:8], v6, v[0:3], s[50:51] offset:24 glc
	s_waitcnt vmcnt(0)
	v_cmp_eq_u64_e32 vcc, v[7:8], v[2:3]
	v_mov_b32_e32 v2, v7
	s_or_b64 s[6:7], vcc, s[6:7]
	v_mov_b32_e32 v3, v8
	s_andn2_b64 exec, exec, s[6:7]
	s_cbranch_execnz .LBB8_844
.LBB8_845:
	s_or_b64 exec, exec, s[14:15]
	v_readfirstlane_b32 s6, v43
	v_mov_b32_e32 v5, 0
	v_mov_b32_e32 v6, 0
	v_cmp_eq_u32_e64 s[6:7], s6, v43
	s_and_saveexec_b64 s[12:13], s[6:7]
	s_cbranch_execz .LBB8_851
; %bb.846:
	v_mov_b32_e32 v0, 0
	global_load_dwordx2 v[3:4], v0, s[50:51] offset:24 glc
	s_waitcnt vmcnt(0)
	buffer_wbinvl1_vol
	global_load_dwordx2 v[1:2], v0, s[50:51] offset:40
	global_load_dwordx2 v[5:6], v0, s[50:51]
	s_waitcnt vmcnt(1)
	v_and_b32_e32 v1, v1, v3
	v_and_b32_e32 v2, v2, v4
	v_mul_lo_u32 v2, v2, 24
	v_mul_hi_u32 v7, v1, 24
	v_mul_lo_u32 v1, v1, 24
	v_add_u32_e32 v2, v7, v2
	s_waitcnt vmcnt(0)
	v_add_co_u32_e32 v1, vcc, v5, v1
	v_addc_co_u32_e32 v2, vcc, v6, v2, vcc
	global_load_dwordx2 v[1:2], v[1:2], off glc
	s_waitcnt vmcnt(0)
	global_atomic_cmpswap_x2 v[5:6], v0, v[1:4], s[50:51] offset:24 glc
	s_waitcnt vmcnt(0)
	buffer_wbinvl1_vol
	v_cmp_ne_u64_e32 vcc, v[5:6], v[3:4]
	s_and_saveexec_b64 s[14:15], vcc
	s_cbranch_execz .LBB8_850
; %bb.847:
	s_mov_b64 s[16:17], 0
.LBB8_848:                              ; =>This Inner Loop Header: Depth=1
	s_sleep 1
	global_load_dwordx2 v[1:2], v0, s[50:51] offset:40
	global_load_dwordx2 v[7:8], v0, s[50:51]
	v_mov_b32_e32 v3, v5
	v_mov_b32_e32 v4, v6
	s_waitcnt vmcnt(1)
	v_and_b32_e32 v1, v1, v3
	s_waitcnt vmcnt(0)
	v_mad_u64_u32 v[5:6], s[18:19], v1, 24, v[7:8]
	v_and_b32_e32 v2, v2, v4
	v_mov_b32_e32 v1, v6
	v_mad_u64_u32 v[1:2], s[18:19], v2, 24, v[1:2]
	v_mov_b32_e32 v6, v1
	global_load_dwordx2 v[1:2], v[5:6], off glc
	s_waitcnt vmcnt(0)
	global_atomic_cmpswap_x2 v[5:6], v0, v[1:4], s[50:51] offset:24 glc
	s_waitcnt vmcnt(0)
	buffer_wbinvl1_vol
	v_cmp_eq_u64_e32 vcc, v[5:6], v[3:4]
	s_or_b64 s[16:17], vcc, s[16:17]
	s_andn2_b64 exec, exec, s[16:17]
	s_cbranch_execnz .LBB8_848
; %bb.849:
	s_or_b64 exec, exec, s[16:17]
.LBB8_850:
	s_or_b64 exec, exec, s[14:15]
.LBB8_851:
	s_or_b64 exec, exec, s[12:13]
	v_mov_b32_e32 v4, 0
	global_load_dwordx2 v[7:8], v4, s[50:51] offset:40
	global_load_dwordx4 v[0:3], v4, s[50:51]
	v_readfirstlane_b32 s12, v5
	v_readfirstlane_b32 s13, v6
	s_mov_b64 s[14:15], exec
	s_waitcnt vmcnt(1)
	v_readfirstlane_b32 s16, v7
	v_readfirstlane_b32 s17, v8
	s_and_b64 s[16:17], s[12:13], s[16:17]
	s_mul_i32 s11, s17, 24
	s_mul_hi_u32 s18, s16, 24
	s_mul_i32 s19, s16, 24
	s_add_i32 s11, s18, s11
	v_mov_b32_e32 v5, s11
	s_waitcnt vmcnt(0)
	v_add_co_u32_e32 v7, vcc, s19, v0
	v_addc_co_u32_e32 v8, vcc, v1, v5, vcc
	s_and_saveexec_b64 s[18:19], s[6:7]
	s_cbranch_execz .LBB8_853
; %bb.852:
	v_mov_b32_e32 v9, s14
	v_mov_b32_e32 v10, s15
	v_mov_b32_e32 v11, 2
	v_mov_b32_e32 v12, 1
	global_store_dwordx4 v[7:8], v[9:12], off offset:8
.LBB8_853:
	s_or_b64 exec, exec, s[18:19]
	s_lshl_b64 s[14:15], s[16:17], 12
	v_mov_b32_e32 v5, s15
	v_add_co_u32_e32 v2, vcc, s14, v2
	v_addc_co_u32_e32 v11, vcc, v3, v5, vcc
	s_mov_b32 s16, 0
	v_mov_b32_e32 v3, 33
	v_mov_b32_e32 v5, v4
	;; [unrolled: 1-line block ×3, first 2 shown]
	v_readfirstlane_b32 s14, v2
	v_readfirstlane_b32 s15, v11
	v_add_co_u32_e32 v9, vcc, v2, v42
	s_mov_b32 s17, s16
	s_mov_b32 s18, s16
	;; [unrolled: 1-line block ×3, first 2 shown]
	s_nop 0
	global_store_dwordx4 v42, v[3:6], s[14:15]
	v_mov_b32_e32 v2, s16
	v_addc_co_u32_e32 v10, vcc, 0, v11, vcc
	v_mov_b32_e32 v3, s17
	v_mov_b32_e32 v4, s18
	;; [unrolled: 1-line block ×3, first 2 shown]
	global_store_dwordx4 v42, v[2:5], s[14:15] offset:16
	global_store_dwordx4 v42, v[2:5], s[14:15] offset:32
	;; [unrolled: 1-line block ×3, first 2 shown]
	s_and_saveexec_b64 s[14:15], s[6:7]
	s_cbranch_execz .LBB8_861
; %bb.854:
	v_mov_b32_e32 v6, 0
	global_load_dwordx2 v[13:14], v6, s[50:51] offset:32 glc
	global_load_dwordx2 v[2:3], v6, s[50:51] offset:40
	v_mov_b32_e32 v11, s12
	v_mov_b32_e32 v12, s13
	s_waitcnt vmcnt(0)
	v_readfirstlane_b32 s16, v2
	v_readfirstlane_b32 s17, v3
	s_and_b64 s[16:17], s[16:17], s[12:13]
	s_mul_i32 s11, s17, 24
	s_mul_hi_u32 s17, s16, 24
	s_mul_i32 s16, s16, 24
	s_add_i32 s11, s17, s11
	v_mov_b32_e32 v2, s11
	v_add_co_u32_e32 v4, vcc, s16, v0
	v_addc_co_u32_e32 v5, vcc, v1, v2, vcc
	global_store_dwordx2 v[4:5], v[13:14], off
	s_waitcnt vmcnt(0)
	global_atomic_cmpswap_x2 v[2:3], v6, v[11:14], s[50:51] offset:32 glc
	s_waitcnt vmcnt(0)
	v_cmp_ne_u64_e32 vcc, v[2:3], v[13:14]
	s_and_saveexec_b64 s[16:17], vcc
	s_cbranch_execz .LBB8_857
; %bb.855:
	s_mov_b64 s[18:19], 0
.LBB8_856:                              ; =>This Inner Loop Header: Depth=1
	s_sleep 1
	global_store_dwordx2 v[4:5], v[2:3], off
	v_mov_b32_e32 v0, s12
	v_mov_b32_e32 v1, s13
	s_waitcnt vmcnt(0)
	global_atomic_cmpswap_x2 v[0:1], v6, v[0:3], s[50:51] offset:32 glc
	s_waitcnt vmcnt(0)
	v_cmp_eq_u64_e32 vcc, v[0:1], v[2:3]
	v_mov_b32_e32 v3, v1
	s_or_b64 s[18:19], vcc, s[18:19]
	v_mov_b32_e32 v2, v0
	s_andn2_b64 exec, exec, s[18:19]
	s_cbranch_execnz .LBB8_856
.LBB8_857:
	s_or_b64 exec, exec, s[16:17]
	v_mov_b32_e32 v3, 0
	global_load_dwordx2 v[0:1], v3, s[50:51] offset:16
	s_mov_b64 s[16:17], exec
	v_mbcnt_lo_u32_b32 v2, s16, 0
	v_mbcnt_hi_u32_b32 v2, s17, v2
	v_cmp_eq_u32_e32 vcc, 0, v2
	s_and_saveexec_b64 s[18:19], vcc
	s_cbranch_execz .LBB8_859
; %bb.858:
	s_bcnt1_i32_b64 s11, s[16:17]
	v_mov_b32_e32 v2, s11
	s_waitcnt vmcnt(0)
	global_atomic_add_x2 v[0:1], v[2:3], off offset:8
.LBB8_859:
	s_or_b64 exec, exec, s[18:19]
	s_waitcnt vmcnt(0)
	global_load_dwordx2 v[2:3], v[0:1], off offset:16
	s_waitcnt vmcnt(0)
	v_cmp_eq_u64_e32 vcc, 0, v[2:3]
	s_cbranch_vccnz .LBB8_861
; %bb.860:
	global_load_dword v0, v[0:1], off offset:24
	v_mov_b32_e32 v1, 0
	s_waitcnt vmcnt(0)
	global_store_dwordx2 v[2:3], v[0:1], off
	v_and_b32_e32 v0, 0xffffff, v0
	v_readfirstlane_b32 m0, v0
	s_sendmsg sendmsg(MSG_INTERRUPT)
.LBB8_861:
	s_or_b64 exec, exec, s[14:15]
	s_branch .LBB8_865
.LBB8_862:                              ;   in Loop: Header=BB8_865 Depth=1
	s_or_b64 exec, exec, s[14:15]
	v_readfirstlane_b32 s11, v0
	s_cmp_eq_u32 s11, 0
	s_cbranch_scc1 .LBB8_864
; %bb.863:                              ;   in Loop: Header=BB8_865 Depth=1
	s_sleep 1
	s_cbranch_execnz .LBB8_865
	s_branch .LBB8_867
.LBB8_864:
	s_branch .LBB8_867
.LBB8_865:                              ; =>This Inner Loop Header: Depth=1
	v_mov_b32_e32 v0, 1
	s_and_saveexec_b64 s[14:15], s[6:7]
	s_cbranch_execz .LBB8_862
; %bb.866:                              ;   in Loop: Header=BB8_865 Depth=1
	global_load_dword v0, v[7:8], off offset:20 glc
	s_waitcnt vmcnt(0)
	buffer_wbinvl1_vol
	v_and_b32_e32 v0, 1, v0
	s_branch .LBB8_862
.LBB8_867:
	global_load_dwordx2 v[0:1], v[9:10], off
	s_and_saveexec_b64 s[14:15], s[6:7]
	s_cbranch_execz .LBB8_870
; %bb.868:
	v_mov_b32_e32 v8, 0
	global_load_dwordx2 v[4:5], v8, s[50:51] offset:40
	global_load_dwordx2 v[9:10], v8, s[50:51] offset:24 glc
	global_load_dwordx2 v[6:7], v8, s[50:51]
	v_mov_b32_e32 v3, s13
	s_mov_b64 s[6:7], 0
	s_waitcnt vmcnt(2)
	v_add_co_u32_e32 v11, vcc, 1, v4
	v_addc_co_u32_e32 v12, vcc, 0, v5, vcc
	v_add_co_u32_e32 v2, vcc, s12, v11
	v_addc_co_u32_e32 v3, vcc, v12, v3, vcc
	v_cmp_eq_u64_e32 vcc, 0, v[2:3]
	v_cndmask_b32_e32 v3, v3, v12, vcc
	v_cndmask_b32_e32 v2, v2, v11, vcc
	v_and_b32_e32 v5, v3, v5
	v_and_b32_e32 v4, v2, v4
	v_mul_lo_u32 v5, v5, 24
	v_mul_hi_u32 v11, v4, 24
	v_mul_lo_u32 v12, v4, 24
	s_waitcnt vmcnt(1)
	v_mov_b32_e32 v4, v9
	v_add_u32_e32 v5, v11, v5
	s_waitcnt vmcnt(0)
	v_add_co_u32_e32 v6, vcc, v6, v12
	v_addc_co_u32_e32 v7, vcc, v7, v5, vcc
	global_store_dwordx2 v[6:7], v[9:10], off
	v_mov_b32_e32 v5, v10
	s_waitcnt vmcnt(0)
	global_atomic_cmpswap_x2 v[4:5], v8, v[2:5], s[50:51] offset:24 glc
	s_waitcnt vmcnt(0)
	v_cmp_ne_u64_e32 vcc, v[4:5], v[9:10]
	s_and_b64 exec, exec, vcc
	s_cbranch_execz .LBB8_870
.LBB8_869:                              ; =>This Inner Loop Header: Depth=1
	s_sleep 1
	global_store_dwordx2 v[6:7], v[4:5], off
	s_waitcnt vmcnt(0)
	global_atomic_cmpswap_x2 v[9:10], v8, v[2:5], s[50:51] offset:24 glc
	s_waitcnt vmcnt(0)
	v_cmp_eq_u64_e32 vcc, v[9:10], v[4:5]
	v_mov_b32_e32 v4, v9
	s_or_b64 s[6:7], vcc, s[6:7]
	v_mov_b32_e32 v5, v10
	s_andn2_b64 exec, exec, s[6:7]
	s_cbranch_execnz .LBB8_869
.LBB8_870:
	s_or_b64 exec, exec, s[14:15]
	s_getpc_b64 s[12:13]
	s_add_u32 s12, s12, .str.7@rel32@lo+4
	s_addc_u32 s13, s13, .str.7@rel32@hi+12
	s_cmp_lg_u64 s[12:13], 0
	s_cbranch_scc0 .LBB8_955
; %bb.871:
	s_waitcnt vmcnt(0)
	v_and_b32_e32 v31, 2, v0
	v_mov_b32_e32 v28, 0
	v_and_b32_e32 v2, -3, v0
	v_mov_b32_e32 v3, v1
	s_mov_b64 s[14:15], 4
	v_mov_b32_e32 v6, 2
	v_mov_b32_e32 v7, 1
	s_branch .LBB8_873
.LBB8_872:                              ;   in Loop: Header=BB8_873 Depth=1
	s_or_b64 exec, exec, s[20:21]
	s_sub_u32 s14, s14, s16
	s_subb_u32 s15, s15, s17
	s_add_u32 s12, s12, s16
	s_addc_u32 s13, s13, s17
	s_cmp_lg_u64 s[14:15], 0
	s_cbranch_scc0 .LBB8_954
.LBB8_873:                              ; =>This Loop Header: Depth=1
                                        ;     Child Loop BB8_876 Depth 2
                                        ;     Child Loop BB8_883 Depth 2
                                        ;     Child Loop BB8_891 Depth 2
                                        ;     Child Loop BB8_899 Depth 2
                                        ;     Child Loop BB8_907 Depth 2
                                        ;     Child Loop BB8_915 Depth 2
                                        ;     Child Loop BB8_923 Depth 2
                                        ;     Child Loop BB8_931 Depth 2
                                        ;     Child Loop BB8_939 Depth 2
                                        ;     Child Loop BB8_948 Depth 2
                                        ;     Child Loop BB8_953 Depth 2
	v_cmp_lt_u64_e64 s[6:7], s[14:15], 56
	v_cmp_gt_u64_e64 s[18:19], s[14:15], 7
	s_and_b64 s[6:7], s[6:7], exec
	s_cselect_b32 s17, s15, 0
	s_cselect_b32 s16, s14, 56
	s_and_b64 vcc, exec, s[18:19]
	s_cbranch_vccnz .LBB8_878
; %bb.874:                              ;   in Loop: Header=BB8_873 Depth=1
	v_mov_b32_e32 v10, 0
	s_cmp_eq_u64 s[14:15], 0
	v_mov_b32_e32 v11, 0
	s_mov_b64 s[6:7], 0
	s_cbranch_scc1 .LBB8_877
; %bb.875:                              ;   in Loop: Header=BB8_873 Depth=1
	v_mov_b32_e32 v10, 0
	s_lshl_b64 s[18:19], s[16:17], 3
	s_mov_b64 s[20:21], 0
	v_mov_b32_e32 v11, 0
	s_mov_b64 s[22:23], s[12:13]
.LBB8_876:                              ;   Parent Loop BB8_873 Depth=1
                                        ; =>  This Inner Loop Header: Depth=2
	global_load_ubyte v4, v28, s[22:23]
	s_waitcnt vmcnt(0)
	v_and_b32_e32 v27, 0xffff, v4
	v_lshlrev_b64 v[4:5], s20, v[27:28]
	s_add_u32 s20, s20, 8
	s_addc_u32 s21, s21, 0
	s_add_u32 s22, s22, 1
	s_addc_u32 s23, s23, 0
	v_or_b32_e32 v10, v4, v10
	s_cmp_lg_u32 s18, s20
	v_or_b32_e32 v11, v5, v11
	s_cbranch_scc1 .LBB8_876
.LBB8_877:                              ;   in Loop: Header=BB8_873 Depth=1
	s_mov_b32 s11, 0
	s_andn2_b64 vcc, exec, s[6:7]
	s_mov_b64 s[6:7], s[12:13]
	s_cbranch_vccz .LBB8_879
	s_branch .LBB8_880
.LBB8_878:                              ;   in Loop: Header=BB8_873 Depth=1
                                        ; implicit-def: $vgpr10_vgpr11
                                        ; implicit-def: $sgpr11
	s_mov_b64 s[6:7], s[12:13]
.LBB8_879:                              ;   in Loop: Header=BB8_873 Depth=1
	global_load_dwordx2 v[10:11], v28, s[12:13]
	s_add_i32 s11, s16, -8
	s_add_u32 s6, s12, 8
	s_addc_u32 s7, s13, 0
.LBB8_880:                              ;   in Loop: Header=BB8_873 Depth=1
	s_cmp_gt_u32 s11, 7
	s_cbranch_scc1 .LBB8_884
; %bb.881:                              ;   in Loop: Header=BB8_873 Depth=1
	s_cmp_eq_u32 s11, 0
	s_cbranch_scc1 .LBB8_885
; %bb.882:                              ;   in Loop: Header=BB8_873 Depth=1
	v_mov_b32_e32 v12, 0
	s_mov_b64 s[18:19], 0
	v_mov_b32_e32 v13, 0
	s_mov_b64 s[20:21], 0
.LBB8_883:                              ;   Parent Loop BB8_873 Depth=1
                                        ; =>  This Inner Loop Header: Depth=2
	s_add_u32 s22, s6, s20
	s_addc_u32 s23, s7, s21
	global_load_ubyte v4, v28, s[22:23]
	s_add_u32 s20, s20, 1
	s_addc_u32 s21, s21, 0
	s_waitcnt vmcnt(0)
	v_and_b32_e32 v27, 0xffff, v4
	v_lshlrev_b64 v[4:5], s18, v[27:28]
	s_add_u32 s18, s18, 8
	s_addc_u32 s19, s19, 0
	v_or_b32_e32 v12, v4, v12
	s_cmp_lg_u32 s11, s20
	v_or_b32_e32 v13, v5, v13
	s_cbranch_scc1 .LBB8_883
	s_branch .LBB8_886
.LBB8_884:                              ;   in Loop: Header=BB8_873 Depth=1
                                        ; implicit-def: $vgpr12_vgpr13
                                        ; implicit-def: $sgpr22
	s_branch .LBB8_887
.LBB8_885:                              ;   in Loop: Header=BB8_873 Depth=1
	v_mov_b32_e32 v12, 0
	v_mov_b32_e32 v13, 0
.LBB8_886:                              ;   in Loop: Header=BB8_873 Depth=1
	s_mov_b32 s22, 0
	s_cbranch_execnz .LBB8_888
.LBB8_887:                              ;   in Loop: Header=BB8_873 Depth=1
	global_load_dwordx2 v[12:13], v28, s[6:7]
	s_add_i32 s22, s11, -8
	s_add_u32 s6, s6, 8
	s_addc_u32 s7, s7, 0
.LBB8_888:                              ;   in Loop: Header=BB8_873 Depth=1
	s_cmp_gt_u32 s22, 7
	s_cbranch_scc1 .LBB8_892
; %bb.889:                              ;   in Loop: Header=BB8_873 Depth=1
	s_cmp_eq_u32 s22, 0
	s_cbranch_scc1 .LBB8_893
; %bb.890:                              ;   in Loop: Header=BB8_873 Depth=1
	v_mov_b32_e32 v14, 0
	s_mov_b64 s[18:19], 0
	v_mov_b32_e32 v15, 0
	s_mov_b64 s[20:21], 0
.LBB8_891:                              ;   Parent Loop BB8_873 Depth=1
                                        ; =>  This Inner Loop Header: Depth=2
	s_add_u32 s24, s6, s20
	s_addc_u32 s25, s7, s21
	global_load_ubyte v4, v28, s[24:25]
	s_add_u32 s20, s20, 1
	s_addc_u32 s21, s21, 0
	s_waitcnt vmcnt(0)
	v_and_b32_e32 v27, 0xffff, v4
	v_lshlrev_b64 v[4:5], s18, v[27:28]
	s_add_u32 s18, s18, 8
	s_addc_u32 s19, s19, 0
	v_or_b32_e32 v14, v4, v14
	s_cmp_lg_u32 s22, s20
	v_or_b32_e32 v15, v5, v15
	s_cbranch_scc1 .LBB8_891
	s_branch .LBB8_894
.LBB8_892:                              ;   in Loop: Header=BB8_873 Depth=1
                                        ; implicit-def: $sgpr11
	s_branch .LBB8_895
.LBB8_893:                              ;   in Loop: Header=BB8_873 Depth=1
	v_mov_b32_e32 v14, 0
	v_mov_b32_e32 v15, 0
.LBB8_894:                              ;   in Loop: Header=BB8_873 Depth=1
	s_mov_b32 s11, 0
	s_cbranch_execnz .LBB8_896
.LBB8_895:                              ;   in Loop: Header=BB8_873 Depth=1
	global_load_dwordx2 v[14:15], v28, s[6:7]
	s_add_i32 s11, s22, -8
	s_add_u32 s6, s6, 8
	s_addc_u32 s7, s7, 0
.LBB8_896:                              ;   in Loop: Header=BB8_873 Depth=1
	s_cmp_gt_u32 s11, 7
	s_cbranch_scc1 .LBB8_900
; %bb.897:                              ;   in Loop: Header=BB8_873 Depth=1
	s_cmp_eq_u32 s11, 0
	s_cbranch_scc1 .LBB8_901
; %bb.898:                              ;   in Loop: Header=BB8_873 Depth=1
	v_mov_b32_e32 v16, 0
	s_mov_b64 s[18:19], 0
	v_mov_b32_e32 v17, 0
	s_mov_b64 s[20:21], 0
.LBB8_899:                              ;   Parent Loop BB8_873 Depth=1
                                        ; =>  This Inner Loop Header: Depth=2
	s_add_u32 s22, s6, s20
	s_addc_u32 s23, s7, s21
	global_load_ubyte v4, v28, s[22:23]
	s_add_u32 s20, s20, 1
	s_addc_u32 s21, s21, 0
	s_waitcnt vmcnt(0)
	v_and_b32_e32 v27, 0xffff, v4
	v_lshlrev_b64 v[4:5], s18, v[27:28]
	s_add_u32 s18, s18, 8
	s_addc_u32 s19, s19, 0
	v_or_b32_e32 v16, v4, v16
	s_cmp_lg_u32 s11, s20
	v_or_b32_e32 v17, v5, v17
	s_cbranch_scc1 .LBB8_899
	s_branch .LBB8_902
.LBB8_900:                              ;   in Loop: Header=BB8_873 Depth=1
                                        ; implicit-def: $vgpr16_vgpr17
                                        ; implicit-def: $sgpr22
	s_branch .LBB8_903
.LBB8_901:                              ;   in Loop: Header=BB8_873 Depth=1
	v_mov_b32_e32 v16, 0
	v_mov_b32_e32 v17, 0
.LBB8_902:                              ;   in Loop: Header=BB8_873 Depth=1
	s_mov_b32 s22, 0
	s_cbranch_execnz .LBB8_904
.LBB8_903:                              ;   in Loop: Header=BB8_873 Depth=1
	global_load_dwordx2 v[16:17], v28, s[6:7]
	s_add_i32 s22, s11, -8
	s_add_u32 s6, s6, 8
	s_addc_u32 s7, s7, 0
.LBB8_904:                              ;   in Loop: Header=BB8_873 Depth=1
	s_cmp_gt_u32 s22, 7
	s_cbranch_scc1 .LBB8_908
; %bb.905:                              ;   in Loop: Header=BB8_873 Depth=1
	s_cmp_eq_u32 s22, 0
	s_cbranch_scc1 .LBB8_909
; %bb.906:                              ;   in Loop: Header=BB8_873 Depth=1
	v_mov_b32_e32 v18, 0
	s_mov_b64 s[18:19], 0
	v_mov_b32_e32 v19, 0
	s_mov_b64 s[20:21], 0
.LBB8_907:                              ;   Parent Loop BB8_873 Depth=1
                                        ; =>  This Inner Loop Header: Depth=2
	s_add_u32 s24, s6, s20
	s_addc_u32 s25, s7, s21
	global_load_ubyte v4, v28, s[24:25]
	s_add_u32 s20, s20, 1
	s_addc_u32 s21, s21, 0
	s_waitcnt vmcnt(0)
	v_and_b32_e32 v27, 0xffff, v4
	v_lshlrev_b64 v[4:5], s18, v[27:28]
	s_add_u32 s18, s18, 8
	s_addc_u32 s19, s19, 0
	v_or_b32_e32 v18, v4, v18
	s_cmp_lg_u32 s22, s20
	v_or_b32_e32 v19, v5, v19
	s_cbranch_scc1 .LBB8_907
	s_branch .LBB8_910
.LBB8_908:                              ;   in Loop: Header=BB8_873 Depth=1
                                        ; implicit-def: $sgpr11
	s_branch .LBB8_911
.LBB8_909:                              ;   in Loop: Header=BB8_873 Depth=1
	v_mov_b32_e32 v18, 0
	v_mov_b32_e32 v19, 0
.LBB8_910:                              ;   in Loop: Header=BB8_873 Depth=1
	s_mov_b32 s11, 0
	s_cbranch_execnz .LBB8_912
.LBB8_911:                              ;   in Loop: Header=BB8_873 Depth=1
	global_load_dwordx2 v[18:19], v28, s[6:7]
	s_add_i32 s11, s22, -8
	s_add_u32 s6, s6, 8
	s_addc_u32 s7, s7, 0
.LBB8_912:                              ;   in Loop: Header=BB8_873 Depth=1
	s_cmp_gt_u32 s11, 7
	s_cbranch_scc1 .LBB8_916
; %bb.913:                              ;   in Loop: Header=BB8_873 Depth=1
	s_cmp_eq_u32 s11, 0
	s_cbranch_scc1 .LBB8_917
; %bb.914:                              ;   in Loop: Header=BB8_873 Depth=1
	v_mov_b32_e32 v20, 0
	s_mov_b64 s[18:19], 0
	v_mov_b32_e32 v21, 0
	s_mov_b64 s[20:21], 0
.LBB8_915:                              ;   Parent Loop BB8_873 Depth=1
                                        ; =>  This Inner Loop Header: Depth=2
	s_add_u32 s22, s6, s20
	s_addc_u32 s23, s7, s21
	global_load_ubyte v4, v28, s[22:23]
	s_add_u32 s20, s20, 1
	s_addc_u32 s21, s21, 0
	s_waitcnt vmcnt(0)
	v_and_b32_e32 v27, 0xffff, v4
	v_lshlrev_b64 v[4:5], s18, v[27:28]
	s_add_u32 s18, s18, 8
	s_addc_u32 s19, s19, 0
	v_or_b32_e32 v20, v4, v20
	s_cmp_lg_u32 s11, s20
	v_or_b32_e32 v21, v5, v21
	s_cbranch_scc1 .LBB8_915
	s_branch .LBB8_918
.LBB8_916:                              ;   in Loop: Header=BB8_873 Depth=1
                                        ; implicit-def: $vgpr20_vgpr21
                                        ; implicit-def: $sgpr22
	s_branch .LBB8_919
.LBB8_917:                              ;   in Loop: Header=BB8_873 Depth=1
	v_mov_b32_e32 v20, 0
	v_mov_b32_e32 v21, 0
.LBB8_918:                              ;   in Loop: Header=BB8_873 Depth=1
	s_mov_b32 s22, 0
	s_cbranch_execnz .LBB8_920
.LBB8_919:                              ;   in Loop: Header=BB8_873 Depth=1
	global_load_dwordx2 v[20:21], v28, s[6:7]
	s_add_i32 s22, s11, -8
	s_add_u32 s6, s6, 8
	s_addc_u32 s7, s7, 0
.LBB8_920:                              ;   in Loop: Header=BB8_873 Depth=1
	s_cmp_gt_u32 s22, 7
	s_cbranch_scc1 .LBB8_924
; %bb.921:                              ;   in Loop: Header=BB8_873 Depth=1
	s_cmp_eq_u32 s22, 0
	s_cbranch_scc1 .LBB8_925
; %bb.922:                              ;   in Loop: Header=BB8_873 Depth=1
	v_mov_b32_e32 v22, 0
	s_mov_b64 s[18:19], 0
	v_mov_b32_e32 v23, 0
	s_mov_b64 s[20:21], s[6:7]
.LBB8_923:                              ;   Parent Loop BB8_873 Depth=1
                                        ; =>  This Inner Loop Header: Depth=2
	global_load_ubyte v4, v28, s[20:21]
	s_add_i32 s22, s22, -1
	s_waitcnt vmcnt(0)
	v_and_b32_e32 v27, 0xffff, v4
	v_lshlrev_b64 v[4:5], s18, v[27:28]
	s_add_u32 s18, s18, 8
	s_addc_u32 s19, s19, 0
	s_add_u32 s20, s20, 1
	s_addc_u32 s21, s21, 0
	v_or_b32_e32 v22, v4, v22
	s_cmp_lg_u32 s22, 0
	v_or_b32_e32 v23, v5, v23
	s_cbranch_scc1 .LBB8_923
	s_branch .LBB8_926
.LBB8_924:                              ;   in Loop: Header=BB8_873 Depth=1
	s_branch .LBB8_927
.LBB8_925:                              ;   in Loop: Header=BB8_873 Depth=1
	v_mov_b32_e32 v22, 0
	v_mov_b32_e32 v23, 0
.LBB8_926:                              ;   in Loop: Header=BB8_873 Depth=1
	s_cbranch_execnz .LBB8_928
.LBB8_927:                              ;   in Loop: Header=BB8_873 Depth=1
	global_load_dwordx2 v[22:23], v28, s[6:7]
.LBB8_928:                              ;   in Loop: Header=BB8_873 Depth=1
	v_readfirstlane_b32 s6, v43
	s_waitcnt vmcnt(0)
	v_mov_b32_e32 v4, 0
	v_mov_b32_e32 v5, 0
	v_cmp_eq_u32_e64 s[6:7], s6, v43
	s_and_saveexec_b64 s[18:19], s[6:7]
	s_cbranch_execz .LBB8_934
; %bb.929:                              ;   in Loop: Header=BB8_873 Depth=1
	global_load_dwordx2 v[26:27], v28, s[50:51] offset:24 glc
	s_waitcnt vmcnt(0)
	buffer_wbinvl1_vol
	global_load_dwordx2 v[4:5], v28, s[50:51] offset:40
	global_load_dwordx2 v[8:9], v28, s[50:51]
	s_waitcnt vmcnt(1)
	v_and_b32_e32 v4, v4, v26
	v_and_b32_e32 v5, v5, v27
	v_mul_lo_u32 v5, v5, 24
	v_mul_hi_u32 v24, v4, 24
	v_mul_lo_u32 v4, v4, 24
	v_add_u32_e32 v5, v24, v5
	s_waitcnt vmcnt(0)
	v_add_co_u32_e32 v4, vcc, v8, v4
	v_addc_co_u32_e32 v5, vcc, v9, v5, vcc
	global_load_dwordx2 v[24:25], v[4:5], off glc
	s_waitcnt vmcnt(0)
	global_atomic_cmpswap_x2 v[4:5], v28, v[24:27], s[50:51] offset:24 glc
	s_waitcnt vmcnt(0)
	buffer_wbinvl1_vol
	v_cmp_ne_u64_e32 vcc, v[4:5], v[26:27]
	s_and_saveexec_b64 s[20:21], vcc
	s_cbranch_execz .LBB8_933
; %bb.930:                              ;   in Loop: Header=BB8_873 Depth=1
	s_mov_b64 s[22:23], 0
.LBB8_931:                              ;   Parent Loop BB8_873 Depth=1
                                        ; =>  This Inner Loop Header: Depth=2
	s_sleep 1
	global_load_dwordx2 v[8:9], v28, s[50:51] offset:40
	global_load_dwordx2 v[24:25], v28, s[50:51]
	v_mov_b32_e32 v27, v5
	v_mov_b32_e32 v26, v4
	s_waitcnt vmcnt(1)
	v_and_b32_e32 v4, v8, v26
	s_waitcnt vmcnt(0)
	v_mad_u64_u32 v[4:5], s[24:25], v4, 24, v[24:25]
	v_and_b32_e32 v8, v9, v27
	v_mad_u64_u32 v[8:9], s[24:25], v8, 24, v[5:6]
	v_mov_b32_e32 v5, v8
	global_load_dwordx2 v[24:25], v[4:5], off glc
	s_waitcnt vmcnt(0)
	global_atomic_cmpswap_x2 v[4:5], v28, v[24:27], s[50:51] offset:24 glc
	s_waitcnt vmcnt(0)
	buffer_wbinvl1_vol
	v_cmp_eq_u64_e32 vcc, v[4:5], v[26:27]
	s_or_b64 s[22:23], vcc, s[22:23]
	s_andn2_b64 exec, exec, s[22:23]
	s_cbranch_execnz .LBB8_931
; %bb.932:                              ;   in Loop: Header=BB8_873 Depth=1
	s_or_b64 exec, exec, s[22:23]
.LBB8_933:                              ;   in Loop: Header=BB8_873 Depth=1
	s_or_b64 exec, exec, s[20:21]
.LBB8_934:                              ;   in Loop: Header=BB8_873 Depth=1
	s_or_b64 exec, exec, s[18:19]
	global_load_dwordx2 v[8:9], v28, s[50:51] offset:40
	global_load_dwordx4 v[24:27], v28, s[50:51]
	v_readfirstlane_b32 s18, v4
	v_readfirstlane_b32 s19, v5
	s_mov_b64 s[22:23], exec
	s_waitcnt vmcnt(1)
	v_readfirstlane_b32 s20, v8
	v_readfirstlane_b32 s21, v9
	s_and_b64 s[20:21], s[18:19], s[20:21]
	s_mul_i32 s11, s21, 24
	s_mul_hi_u32 s24, s20, 24
	s_mul_i32 s25, s20, 24
	s_add_i32 s11, s24, s11
	v_mov_b32_e32 v4, s11
	s_waitcnt vmcnt(0)
	v_add_co_u32_e32 v29, vcc, s25, v24
	v_addc_co_u32_e32 v30, vcc, v25, v4, vcc
	s_and_saveexec_b64 s[24:25], s[6:7]
	s_cbranch_execz .LBB8_936
; %bb.935:                              ;   in Loop: Header=BB8_873 Depth=1
	v_mov_b32_e32 v4, s22
	v_mov_b32_e32 v5, s23
	global_store_dwordx4 v[29:30], v[4:7], off offset:8
.LBB8_936:                              ;   in Loop: Header=BB8_873 Depth=1
	s_or_b64 exec, exec, s[24:25]
	v_cmp_gt_u64_e64 vcc, s[14:15], 56
	v_or_b32_e32 v4, 0, v3
	v_cndmask_b32_e32 v9, v4, v3, vcc
	v_or_b32_e32 v3, v2, v31
	s_lshl_b32 s11, s16, 2
	v_cndmask_b32_e32 v2, v3, v2, vcc
	s_add_i32 s11, s11, 28
	s_and_b32 s11, s11, 0x1e0
	v_and_b32_e32 v2, 0xffffff1f, v2
	s_lshl_b64 s[20:21], s[20:21], 12
	v_or_b32_e32 v8, s11, v2
	v_mov_b32_e32 v2, s21
	v_add_co_u32_e32 v26, vcc, s20, v26
	v_addc_co_u32_e32 v32, vcc, v27, v2, vcc
	v_readfirstlane_b32 s20, v26
	v_readfirstlane_b32 s21, v32
	s_nop 4
	global_store_dwordx4 v42, v[8:11], s[20:21]
	global_store_dwordx4 v42, v[12:15], s[20:21] offset:16
	global_store_dwordx4 v42, v[16:19], s[20:21] offset:32
	;; [unrolled: 1-line block ×3, first 2 shown]
	s_and_saveexec_b64 s[20:21], s[6:7]
	s_cbranch_execz .LBB8_944
; %bb.937:                              ;   in Loop: Header=BB8_873 Depth=1
	global_load_dwordx2 v[12:13], v28, s[50:51] offset:32 glc
	global_load_dwordx2 v[2:3], v28, s[50:51] offset:40
	v_mov_b32_e32 v10, s18
	v_mov_b32_e32 v11, s19
	s_waitcnt vmcnt(0)
	v_readfirstlane_b32 s22, v2
	v_readfirstlane_b32 s23, v3
	s_and_b64 s[22:23], s[22:23], s[18:19]
	s_mul_i32 s11, s23, 24
	s_mul_hi_u32 s23, s22, 24
	s_mul_i32 s22, s22, 24
	s_add_i32 s11, s23, s11
	v_mov_b32_e32 v2, s11
	v_add_co_u32_e32 v8, vcc, s22, v24
	v_addc_co_u32_e32 v9, vcc, v25, v2, vcc
	global_store_dwordx2 v[8:9], v[12:13], off
	s_waitcnt vmcnt(0)
	global_atomic_cmpswap_x2 v[4:5], v28, v[10:13], s[50:51] offset:32 glc
	s_waitcnt vmcnt(0)
	v_cmp_ne_u64_e32 vcc, v[4:5], v[12:13]
	s_and_saveexec_b64 s[22:23], vcc
	s_cbranch_execz .LBB8_940
; %bb.938:                              ;   in Loop: Header=BB8_873 Depth=1
	s_mov_b64 s[24:25], 0
.LBB8_939:                              ;   Parent Loop BB8_873 Depth=1
                                        ; =>  This Inner Loop Header: Depth=2
	s_sleep 1
	global_store_dwordx2 v[8:9], v[4:5], off
	v_mov_b32_e32 v2, s18
	v_mov_b32_e32 v3, s19
	s_waitcnt vmcnt(0)
	global_atomic_cmpswap_x2 v[2:3], v28, v[2:5], s[50:51] offset:32 glc
	s_waitcnt vmcnt(0)
	v_cmp_eq_u64_e32 vcc, v[2:3], v[4:5]
	v_mov_b32_e32 v5, v3
	s_or_b64 s[24:25], vcc, s[24:25]
	v_mov_b32_e32 v4, v2
	s_andn2_b64 exec, exec, s[24:25]
	s_cbranch_execnz .LBB8_939
.LBB8_940:                              ;   in Loop: Header=BB8_873 Depth=1
	s_or_b64 exec, exec, s[22:23]
	global_load_dwordx2 v[2:3], v28, s[50:51] offset:16
	s_mov_b64 s[24:25], exec
	v_mbcnt_lo_u32_b32 v4, s24, 0
	v_mbcnt_hi_u32_b32 v4, s25, v4
	v_cmp_eq_u32_e32 vcc, 0, v4
	s_and_saveexec_b64 s[22:23], vcc
	s_cbranch_execz .LBB8_942
; %bb.941:                              ;   in Loop: Header=BB8_873 Depth=1
	s_bcnt1_i32_b64 s11, s[24:25]
	v_mov_b32_e32 v27, s11
	s_waitcnt vmcnt(0)
	global_atomic_add_x2 v[2:3], v[27:28], off offset:8
.LBB8_942:                              ;   in Loop: Header=BB8_873 Depth=1
	s_or_b64 exec, exec, s[22:23]
	s_waitcnt vmcnt(0)
	global_load_dwordx2 v[4:5], v[2:3], off offset:16
	s_waitcnt vmcnt(0)
	v_cmp_eq_u64_e32 vcc, 0, v[4:5]
	s_cbranch_vccnz .LBB8_944
; %bb.943:                              ;   in Loop: Header=BB8_873 Depth=1
	global_load_dword v27, v[2:3], off offset:24
	s_waitcnt vmcnt(0)
	v_and_b32_e32 v2, 0xffffff, v27
	v_readfirstlane_b32 m0, v2
	global_store_dwordx2 v[4:5], v[27:28], off
	s_sendmsg sendmsg(MSG_INTERRUPT)
.LBB8_944:                              ;   in Loop: Header=BB8_873 Depth=1
	s_or_b64 exec, exec, s[20:21]
	v_add_co_u32_e32 v2, vcc, v26, v42
	v_addc_co_u32_e32 v3, vcc, 0, v32, vcc
	s_branch .LBB8_948
.LBB8_945:                              ;   in Loop: Header=BB8_948 Depth=2
	s_or_b64 exec, exec, s[20:21]
	v_readfirstlane_b32 s11, v4
	s_cmp_eq_u32 s11, 0
	s_cbranch_scc1 .LBB8_947
; %bb.946:                              ;   in Loop: Header=BB8_948 Depth=2
	s_sleep 1
	s_cbranch_execnz .LBB8_948
	s_branch .LBB8_950
.LBB8_947:                              ;   in Loop: Header=BB8_873 Depth=1
	s_branch .LBB8_950
.LBB8_948:                              ;   Parent Loop BB8_873 Depth=1
                                        ; =>  This Inner Loop Header: Depth=2
	v_mov_b32_e32 v4, 1
	s_and_saveexec_b64 s[20:21], s[6:7]
	s_cbranch_execz .LBB8_945
; %bb.949:                              ;   in Loop: Header=BB8_948 Depth=2
	global_load_dword v4, v[29:30], off offset:20 glc
	s_waitcnt vmcnt(0)
	buffer_wbinvl1_vol
	v_and_b32_e32 v4, 1, v4
	s_branch .LBB8_945
.LBB8_950:                              ;   in Loop: Header=BB8_873 Depth=1
	global_load_dwordx4 v[2:5], v[2:3], off
	s_and_saveexec_b64 s[20:21], s[6:7]
	s_cbranch_execz .LBB8_872
; %bb.951:                              ;   in Loop: Header=BB8_873 Depth=1
	global_load_dwordx2 v[4:5], v28, s[50:51] offset:40
	global_load_dwordx2 v[12:13], v28, s[50:51] offset:24 glc
	global_load_dwordx2 v[14:15], v28, s[50:51]
	v_mov_b32_e32 v9, s19
	s_waitcnt vmcnt(2)
	v_add_co_u32_e32 v10, vcc, 1, v4
	v_addc_co_u32_e32 v11, vcc, 0, v5, vcc
	v_add_co_u32_e32 v8, vcc, s18, v10
	v_addc_co_u32_e32 v9, vcc, v11, v9, vcc
	v_cmp_eq_u64_e32 vcc, 0, v[8:9]
	v_cndmask_b32_e32 v9, v9, v11, vcc
	v_cndmask_b32_e32 v8, v8, v10, vcc
	v_and_b32_e32 v5, v9, v5
	v_and_b32_e32 v4, v8, v4
	v_mul_lo_u32 v5, v5, 24
	v_mul_hi_u32 v11, v4, 24
	v_mul_lo_u32 v4, v4, 24
	s_waitcnt vmcnt(1)
	v_mov_b32_e32 v10, v12
	v_add_u32_e32 v5, v11, v5
	s_waitcnt vmcnt(0)
	v_add_co_u32_e32 v4, vcc, v14, v4
	v_addc_co_u32_e32 v5, vcc, v15, v5, vcc
	global_store_dwordx2 v[4:5], v[12:13], off
	v_mov_b32_e32 v11, v13
	s_waitcnt vmcnt(0)
	global_atomic_cmpswap_x2 v[10:11], v28, v[8:11], s[50:51] offset:24 glc
	s_waitcnt vmcnt(0)
	v_cmp_ne_u64_e32 vcc, v[10:11], v[12:13]
	s_and_b64 exec, exec, vcc
	s_cbranch_execz .LBB8_872
; %bb.952:                              ;   in Loop: Header=BB8_873 Depth=1
	s_mov_b64 s[6:7], 0
.LBB8_953:                              ;   Parent Loop BB8_873 Depth=1
                                        ; =>  This Inner Loop Header: Depth=2
	s_sleep 1
	global_store_dwordx2 v[4:5], v[10:11], off
	s_waitcnt vmcnt(0)
	global_atomic_cmpswap_x2 v[12:13], v28, v[8:11], s[50:51] offset:24 glc
	s_waitcnt vmcnt(0)
	v_cmp_eq_u64_e32 vcc, v[12:13], v[10:11]
	v_mov_b32_e32 v10, v12
	s_or_b64 s[6:7], vcc, s[6:7]
	v_mov_b32_e32 v11, v13
	s_andn2_b64 exec, exec, s[6:7]
	s_cbranch_execnz .LBB8_953
	s_branch .LBB8_872
.LBB8_954:
	s_mov_b64 s[6:7], 0
	s_branch .LBB8_956
.LBB8_955:
	s_mov_b64 s[6:7], -1
                                        ; implicit-def: $vgpr2_vgpr3
.LBB8_956:
	s_and_b64 vcc, exec, s[6:7]
	s_cbranch_vccz .LBB8_983
; %bb.957:
	v_readfirstlane_b32 s6, v43
	v_mov_b32_e32 v8, 0
	v_mov_b32_e32 v9, 0
	v_cmp_eq_u32_e64 s[6:7], s6, v43
	s_and_saveexec_b64 s[12:13], s[6:7]
	s_cbranch_execz .LBB8_963
; %bb.958:
	s_waitcnt vmcnt(0)
	v_mov_b32_e32 v2, 0
	global_load_dwordx2 v[5:6], v2, s[50:51] offset:24 glc
	s_waitcnt vmcnt(0)
	buffer_wbinvl1_vol
	global_load_dwordx2 v[3:4], v2, s[50:51] offset:40
	global_load_dwordx2 v[7:8], v2, s[50:51]
	s_waitcnt vmcnt(1)
	v_and_b32_e32 v3, v3, v5
	v_and_b32_e32 v4, v4, v6
	v_mul_lo_u32 v4, v4, 24
	v_mul_hi_u32 v9, v3, 24
	v_mul_lo_u32 v3, v3, 24
	v_add_u32_e32 v4, v9, v4
	s_waitcnt vmcnt(0)
	v_add_co_u32_e32 v3, vcc, v7, v3
	v_addc_co_u32_e32 v4, vcc, v8, v4, vcc
	global_load_dwordx2 v[3:4], v[3:4], off glc
	s_waitcnt vmcnt(0)
	global_atomic_cmpswap_x2 v[8:9], v2, v[3:6], s[50:51] offset:24 glc
	s_waitcnt vmcnt(0)
	buffer_wbinvl1_vol
	v_cmp_ne_u64_e32 vcc, v[8:9], v[5:6]
	s_and_saveexec_b64 s[14:15], vcc
	s_cbranch_execz .LBB8_962
; %bb.959:
	s_mov_b64 s[16:17], 0
.LBB8_960:                              ; =>This Inner Loop Header: Depth=1
	s_sleep 1
	global_load_dwordx2 v[3:4], v2, s[50:51] offset:40
	global_load_dwordx2 v[10:11], v2, s[50:51]
	v_mov_b32_e32 v5, v8
	v_mov_b32_e32 v6, v9
	s_waitcnt vmcnt(1)
	v_and_b32_e32 v3, v3, v5
	s_waitcnt vmcnt(0)
	v_mad_u64_u32 v[7:8], s[18:19], v3, 24, v[10:11]
	v_and_b32_e32 v4, v4, v6
	v_mov_b32_e32 v3, v8
	v_mad_u64_u32 v[3:4], s[18:19], v4, 24, v[3:4]
	v_mov_b32_e32 v8, v3
	global_load_dwordx2 v[3:4], v[7:8], off glc
	s_waitcnt vmcnt(0)
	global_atomic_cmpswap_x2 v[8:9], v2, v[3:6], s[50:51] offset:24 glc
	s_waitcnt vmcnt(0)
	buffer_wbinvl1_vol
	v_cmp_eq_u64_e32 vcc, v[8:9], v[5:6]
	s_or_b64 s[16:17], vcc, s[16:17]
	s_andn2_b64 exec, exec, s[16:17]
	s_cbranch_execnz .LBB8_960
; %bb.961:
	s_or_b64 exec, exec, s[16:17]
.LBB8_962:
	s_or_b64 exec, exec, s[14:15]
.LBB8_963:
	s_or_b64 exec, exec, s[12:13]
	s_waitcnt vmcnt(0)
	v_mov_b32_e32 v2, 0
	global_load_dwordx2 v[10:11], v2, s[50:51] offset:40
	global_load_dwordx4 v[4:7], v2, s[50:51]
	v_readfirstlane_b32 s12, v8
	v_readfirstlane_b32 s13, v9
	s_mov_b64 s[14:15], exec
	s_waitcnt vmcnt(1)
	v_readfirstlane_b32 s16, v10
	v_readfirstlane_b32 s17, v11
	s_and_b64 s[16:17], s[12:13], s[16:17]
	s_mul_i32 s11, s17, 24
	s_mul_hi_u32 s18, s16, 24
	s_mul_i32 s19, s16, 24
	s_add_i32 s11, s18, s11
	v_mov_b32_e32 v3, s11
	s_waitcnt vmcnt(0)
	v_add_co_u32_e32 v8, vcc, s19, v4
	v_addc_co_u32_e32 v9, vcc, v5, v3, vcc
	s_and_saveexec_b64 s[18:19], s[6:7]
	s_cbranch_execz .LBB8_965
; %bb.964:
	v_mov_b32_e32 v10, s14
	v_mov_b32_e32 v11, s15
	;; [unrolled: 1-line block ×4, first 2 shown]
	global_store_dwordx4 v[8:9], v[10:13], off offset:8
.LBB8_965:
	s_or_b64 exec, exec, s[18:19]
	s_lshl_b64 s[14:15], s[16:17], 12
	v_mov_b32_e32 v3, s15
	v_add_co_u32_e32 v10, vcc, s14, v6
	v_addc_co_u32_e32 v11, vcc, v7, v3, vcc
	s_movk_i32 s11, 0xff1f
	v_and_or_b32 v0, v0, s11, 32
	s_mov_b32 s16, 0
	v_mov_b32_e32 v3, v2
	v_readfirstlane_b32 s14, v10
	v_readfirstlane_b32 s15, v11
	v_add_co_u32_e32 v6, vcc, v10, v42
	s_mov_b32 s17, s16
	s_mov_b32 s18, s16
	;; [unrolled: 1-line block ×3, first 2 shown]
	s_nop 0
	global_store_dwordx4 v42, v[0:3], s[14:15]
	v_addc_co_u32_e32 v7, vcc, 0, v11, vcc
	v_mov_b32_e32 v0, s16
	v_mov_b32_e32 v1, s17
	;; [unrolled: 1-line block ×4, first 2 shown]
	global_store_dwordx4 v42, v[0:3], s[14:15] offset:16
	global_store_dwordx4 v42, v[0:3], s[14:15] offset:32
	;; [unrolled: 1-line block ×3, first 2 shown]
	s_and_saveexec_b64 s[14:15], s[6:7]
	s_cbranch_execz .LBB8_973
; %bb.966:
	v_mov_b32_e32 v10, 0
	global_load_dwordx2 v[13:14], v10, s[50:51] offset:32 glc
	global_load_dwordx2 v[0:1], v10, s[50:51] offset:40
	v_mov_b32_e32 v11, s12
	v_mov_b32_e32 v12, s13
	s_waitcnt vmcnt(0)
	v_readfirstlane_b32 s16, v0
	v_readfirstlane_b32 s17, v1
	s_and_b64 s[16:17], s[16:17], s[12:13]
	s_mul_i32 s11, s17, 24
	s_mul_hi_u32 s17, s16, 24
	s_mul_i32 s16, s16, 24
	s_add_i32 s11, s17, s11
	v_mov_b32_e32 v0, s11
	v_add_co_u32_e32 v4, vcc, s16, v4
	v_addc_co_u32_e32 v5, vcc, v5, v0, vcc
	global_store_dwordx2 v[4:5], v[13:14], off
	s_waitcnt vmcnt(0)
	global_atomic_cmpswap_x2 v[2:3], v10, v[11:14], s[50:51] offset:32 glc
	s_waitcnt vmcnt(0)
	v_cmp_ne_u64_e32 vcc, v[2:3], v[13:14]
	s_and_saveexec_b64 s[16:17], vcc
	s_cbranch_execz .LBB8_969
; %bb.967:
	s_mov_b64 s[18:19], 0
.LBB8_968:                              ; =>This Inner Loop Header: Depth=1
	s_sleep 1
	global_store_dwordx2 v[4:5], v[2:3], off
	v_mov_b32_e32 v0, s12
	v_mov_b32_e32 v1, s13
	s_waitcnt vmcnt(0)
	global_atomic_cmpswap_x2 v[0:1], v10, v[0:3], s[50:51] offset:32 glc
	s_waitcnt vmcnt(0)
	v_cmp_eq_u64_e32 vcc, v[0:1], v[2:3]
	v_mov_b32_e32 v3, v1
	s_or_b64 s[18:19], vcc, s[18:19]
	v_mov_b32_e32 v2, v0
	s_andn2_b64 exec, exec, s[18:19]
	s_cbranch_execnz .LBB8_968
.LBB8_969:
	s_or_b64 exec, exec, s[16:17]
	v_mov_b32_e32 v3, 0
	global_load_dwordx2 v[0:1], v3, s[50:51] offset:16
	s_mov_b64 s[16:17], exec
	v_mbcnt_lo_u32_b32 v2, s16, 0
	v_mbcnt_hi_u32_b32 v2, s17, v2
	v_cmp_eq_u32_e32 vcc, 0, v2
	s_and_saveexec_b64 s[18:19], vcc
	s_cbranch_execz .LBB8_971
; %bb.970:
	s_bcnt1_i32_b64 s11, s[16:17]
	v_mov_b32_e32 v2, s11
	s_waitcnt vmcnt(0)
	global_atomic_add_x2 v[0:1], v[2:3], off offset:8
.LBB8_971:
	s_or_b64 exec, exec, s[18:19]
	s_waitcnt vmcnt(0)
	global_load_dwordx2 v[2:3], v[0:1], off offset:16
	s_waitcnt vmcnt(0)
	v_cmp_eq_u64_e32 vcc, 0, v[2:3]
	s_cbranch_vccnz .LBB8_973
; %bb.972:
	global_load_dword v0, v[0:1], off offset:24
	v_mov_b32_e32 v1, 0
	s_waitcnt vmcnt(0)
	global_store_dwordx2 v[2:3], v[0:1], off
	v_and_b32_e32 v0, 0xffffff, v0
	v_readfirstlane_b32 m0, v0
	s_sendmsg sendmsg(MSG_INTERRUPT)
.LBB8_973:
	s_or_b64 exec, exec, s[14:15]
	s_branch .LBB8_977
.LBB8_974:                              ;   in Loop: Header=BB8_977 Depth=1
	s_or_b64 exec, exec, s[14:15]
	v_readfirstlane_b32 s11, v0
	s_cmp_eq_u32 s11, 0
	s_cbranch_scc1 .LBB8_976
; %bb.975:                              ;   in Loop: Header=BB8_977 Depth=1
	s_sleep 1
	s_cbranch_execnz .LBB8_977
	s_branch .LBB8_979
.LBB8_976:
	s_branch .LBB8_979
.LBB8_977:                              ; =>This Inner Loop Header: Depth=1
	v_mov_b32_e32 v0, 1
	s_and_saveexec_b64 s[14:15], s[6:7]
	s_cbranch_execz .LBB8_974
; %bb.978:                              ;   in Loop: Header=BB8_977 Depth=1
	global_load_dword v0, v[8:9], off offset:20 glc
	s_waitcnt vmcnt(0)
	buffer_wbinvl1_vol
	v_and_b32_e32 v0, 1, v0
	s_branch .LBB8_974
.LBB8_979:
	global_load_dwordx2 v[2:3], v[6:7], off
	s_and_saveexec_b64 s[14:15], s[6:7]
	s_cbranch_execz .LBB8_982
; %bb.980:
	v_mov_b32_e32 v8, 0
	global_load_dwordx2 v[0:1], v8, s[50:51] offset:40
	global_load_dwordx2 v[9:10], v8, s[50:51] offset:24 glc
	global_load_dwordx2 v[11:12], v8, s[50:51]
	v_mov_b32_e32 v5, s13
	s_mov_b64 s[6:7], 0
	s_waitcnt vmcnt(2)
	v_add_co_u32_e32 v6, vcc, 1, v0
	v_addc_co_u32_e32 v7, vcc, 0, v1, vcc
	v_add_co_u32_e32 v4, vcc, s12, v6
	v_addc_co_u32_e32 v5, vcc, v7, v5, vcc
	v_cmp_eq_u64_e32 vcc, 0, v[4:5]
	v_cndmask_b32_e32 v5, v5, v7, vcc
	v_cndmask_b32_e32 v4, v4, v6, vcc
	v_and_b32_e32 v1, v5, v1
	v_and_b32_e32 v0, v4, v0
	v_mul_lo_u32 v1, v1, 24
	v_mul_hi_u32 v7, v0, 24
	v_mul_lo_u32 v0, v0, 24
	s_waitcnt vmcnt(1)
	v_mov_b32_e32 v6, v9
	v_add_u32_e32 v1, v7, v1
	s_waitcnt vmcnt(0)
	v_add_co_u32_e32 v0, vcc, v11, v0
	v_addc_co_u32_e32 v1, vcc, v12, v1, vcc
	global_store_dwordx2 v[0:1], v[9:10], off
	v_mov_b32_e32 v7, v10
	s_waitcnt vmcnt(0)
	global_atomic_cmpswap_x2 v[6:7], v8, v[4:7], s[50:51] offset:24 glc
	s_waitcnt vmcnt(0)
	v_cmp_ne_u64_e32 vcc, v[6:7], v[9:10]
	s_and_b64 exec, exec, vcc
	s_cbranch_execz .LBB8_982
.LBB8_981:                              ; =>This Inner Loop Header: Depth=1
	s_sleep 1
	global_store_dwordx2 v[0:1], v[6:7], off
	s_waitcnt vmcnt(0)
	global_atomic_cmpswap_x2 v[9:10], v8, v[4:7], s[50:51] offset:24 glc
	s_waitcnt vmcnt(0)
	v_cmp_eq_u64_e32 vcc, v[9:10], v[6:7]
	v_mov_b32_e32 v6, v9
	s_or_b64 s[6:7], vcc, s[6:7]
	v_mov_b32_e32 v7, v10
	s_andn2_b64 exec, exec, s[6:7]
	s_cbranch_execnz .LBB8_981
.LBB8_982:
	s_or_b64 exec, exec, s[14:15]
.LBB8_983:
	v_readfirstlane_b32 s6, v43
	s_waitcnt vmcnt(0)
	v_mov_b32_e32 v0, 0
	v_mov_b32_e32 v1, 0
	v_cmp_eq_u32_e64 s[6:7], s6, v43
	s_and_saveexec_b64 s[12:13], s[6:7]
	s_cbranch_execz .LBB8_989
; %bb.984:
	v_mov_b32_e32 v4, 0
	global_load_dwordx2 v[7:8], v4, s[50:51] offset:24 glc
	s_waitcnt vmcnt(0)
	buffer_wbinvl1_vol
	global_load_dwordx2 v[0:1], v4, s[50:51] offset:40
	global_load_dwordx2 v[5:6], v4, s[50:51]
	s_waitcnt vmcnt(1)
	v_and_b32_e32 v0, v0, v7
	v_and_b32_e32 v1, v1, v8
	v_mul_lo_u32 v1, v1, 24
	v_mul_hi_u32 v9, v0, 24
	v_mul_lo_u32 v0, v0, 24
	v_add_u32_e32 v1, v9, v1
	s_waitcnt vmcnt(0)
	v_add_co_u32_e32 v0, vcc, v5, v0
	v_addc_co_u32_e32 v1, vcc, v6, v1, vcc
	global_load_dwordx2 v[5:6], v[0:1], off glc
	s_waitcnt vmcnt(0)
	global_atomic_cmpswap_x2 v[0:1], v4, v[5:8], s[50:51] offset:24 glc
	s_waitcnt vmcnt(0)
	buffer_wbinvl1_vol
	v_cmp_ne_u64_e32 vcc, v[0:1], v[7:8]
	s_and_saveexec_b64 s[14:15], vcc
	s_cbranch_execz .LBB8_988
; %bb.985:
	s_mov_b64 s[16:17], 0
.LBB8_986:                              ; =>This Inner Loop Header: Depth=1
	s_sleep 1
	global_load_dwordx2 v[5:6], v4, s[50:51] offset:40
	global_load_dwordx2 v[9:10], v4, s[50:51]
	v_mov_b32_e32 v8, v1
	v_mov_b32_e32 v7, v0
	s_waitcnt vmcnt(1)
	v_and_b32_e32 v0, v5, v7
	s_waitcnt vmcnt(0)
	v_mad_u64_u32 v[0:1], s[18:19], v0, 24, v[9:10]
	v_and_b32_e32 v5, v6, v8
	v_mad_u64_u32 v[5:6], s[18:19], v5, 24, v[1:2]
	v_mov_b32_e32 v1, v5
	global_load_dwordx2 v[5:6], v[0:1], off glc
	s_waitcnt vmcnt(0)
	global_atomic_cmpswap_x2 v[0:1], v4, v[5:8], s[50:51] offset:24 glc
	s_waitcnt vmcnt(0)
	buffer_wbinvl1_vol
	v_cmp_eq_u64_e32 vcc, v[0:1], v[7:8]
	s_or_b64 s[16:17], vcc, s[16:17]
	s_andn2_b64 exec, exec, s[16:17]
	s_cbranch_execnz .LBB8_986
; %bb.987:
	s_or_b64 exec, exec, s[16:17]
.LBB8_988:
	s_or_b64 exec, exec, s[14:15]
.LBB8_989:
	s_or_b64 exec, exec, s[12:13]
	v_mov_b32_e32 v5, 0
	global_load_dwordx2 v[10:11], v5, s[50:51] offset:40
	global_load_dwordx4 v[6:9], v5, s[50:51]
	v_readfirstlane_b32 s12, v0
	v_readfirstlane_b32 s13, v1
	s_mov_b64 s[14:15], exec
	s_waitcnt vmcnt(1)
	v_readfirstlane_b32 s16, v10
	v_readfirstlane_b32 s17, v11
	s_and_b64 s[16:17], s[12:13], s[16:17]
	s_mul_i32 s11, s17, 24
	s_mul_hi_u32 s18, s16, 24
	s_mul_i32 s19, s16, 24
	s_add_i32 s11, s18, s11
	v_mov_b32_e32 v0, s11
	s_waitcnt vmcnt(0)
	v_add_co_u32_e32 v10, vcc, s19, v6
	v_addc_co_u32_e32 v11, vcc, v7, v0, vcc
	s_and_saveexec_b64 s[18:19], s[6:7]
	s_cbranch_execz .LBB8_991
; %bb.990:
	v_mov_b32_e32 v12, s14
	v_mov_b32_e32 v13, s15
	;; [unrolled: 1-line block ×4, first 2 shown]
	global_store_dwordx4 v[10:11], v[12:15], off offset:8
.LBB8_991:
	s_or_b64 exec, exec, s[18:19]
	s_lshl_b64 s[14:15], s[16:17], 12
	v_mov_b32_e32 v0, s15
	v_add_co_u32_e32 v1, vcc, s14, v8
	v_addc_co_u32_e32 v0, vcc, v9, v0, vcc
	s_movk_i32 s11, 0xff1d
	v_and_or_b32 v2, v2, s11, 34
	s_mov_b32 s16, 0
	v_mov_b32_e32 v4, 0x378
	v_readfirstlane_b32 s14, v1
	v_readfirstlane_b32 s15, v0
	s_mov_b32 s17, s16
	s_mov_b32 s18, s16
	;; [unrolled: 1-line block ×3, first 2 shown]
	s_nop 1
	global_store_dwordx4 v42, v[2:5], s[14:15]
	v_mov_b32_e32 v0, s16
	v_mov_b32_e32 v1, s17
	;; [unrolled: 1-line block ×4, first 2 shown]
	global_store_dwordx4 v42, v[0:3], s[14:15] offset:16
	global_store_dwordx4 v42, v[0:3], s[14:15] offset:32
	;; [unrolled: 1-line block ×3, first 2 shown]
	s_and_saveexec_b64 s[14:15], s[6:7]
	s_cbranch_execz .LBB8_999
; %bb.992:
	v_mov_b32_e32 v8, 0
	global_load_dwordx2 v[14:15], v8, s[50:51] offset:32 glc
	global_load_dwordx2 v[0:1], v8, s[50:51] offset:40
	v_mov_b32_e32 v12, s12
	v_mov_b32_e32 v13, s13
	s_waitcnt vmcnt(0)
	v_readfirstlane_b32 s16, v0
	v_readfirstlane_b32 s17, v1
	s_and_b64 s[16:17], s[16:17], s[12:13]
	s_mul_i32 s11, s17, 24
	s_mul_hi_u32 s17, s16, 24
	s_mul_i32 s16, s16, 24
	s_add_i32 s11, s17, s11
	v_mov_b32_e32 v0, s11
	v_add_co_u32_e32 v4, vcc, s16, v6
	v_addc_co_u32_e32 v5, vcc, v7, v0, vcc
	global_store_dwordx2 v[4:5], v[14:15], off
	s_waitcnt vmcnt(0)
	global_atomic_cmpswap_x2 v[2:3], v8, v[12:15], s[50:51] offset:32 glc
	s_waitcnt vmcnt(0)
	v_cmp_ne_u64_e32 vcc, v[2:3], v[14:15]
	s_and_saveexec_b64 s[16:17], vcc
	s_cbranch_execz .LBB8_995
; %bb.993:
	s_mov_b64 s[18:19], 0
.LBB8_994:                              ; =>This Inner Loop Header: Depth=1
	s_sleep 1
	global_store_dwordx2 v[4:5], v[2:3], off
	v_mov_b32_e32 v0, s12
	v_mov_b32_e32 v1, s13
	s_waitcnt vmcnt(0)
	global_atomic_cmpswap_x2 v[0:1], v8, v[0:3], s[50:51] offset:32 glc
	s_waitcnt vmcnt(0)
	v_cmp_eq_u64_e32 vcc, v[0:1], v[2:3]
	v_mov_b32_e32 v3, v1
	s_or_b64 s[18:19], vcc, s[18:19]
	v_mov_b32_e32 v2, v0
	s_andn2_b64 exec, exec, s[18:19]
	s_cbranch_execnz .LBB8_994
.LBB8_995:
	s_or_b64 exec, exec, s[16:17]
	v_mov_b32_e32 v3, 0
	global_load_dwordx2 v[0:1], v3, s[50:51] offset:16
	s_mov_b64 s[16:17], exec
	v_mbcnt_lo_u32_b32 v2, s16, 0
	v_mbcnt_hi_u32_b32 v2, s17, v2
	v_cmp_eq_u32_e32 vcc, 0, v2
	s_and_saveexec_b64 s[18:19], vcc
	s_cbranch_execz .LBB8_997
; %bb.996:
	s_bcnt1_i32_b64 s11, s[16:17]
	v_mov_b32_e32 v2, s11
	s_waitcnt vmcnt(0)
	global_atomic_add_x2 v[0:1], v[2:3], off offset:8
.LBB8_997:
	s_or_b64 exec, exec, s[18:19]
	s_waitcnt vmcnt(0)
	global_load_dwordx2 v[2:3], v[0:1], off offset:16
	s_waitcnt vmcnt(0)
	v_cmp_eq_u64_e32 vcc, 0, v[2:3]
	s_cbranch_vccnz .LBB8_999
; %bb.998:
	global_load_dword v0, v[0:1], off offset:24
	v_mov_b32_e32 v1, 0
	s_waitcnt vmcnt(0)
	global_store_dwordx2 v[2:3], v[0:1], off
	v_and_b32_e32 v0, 0xffffff, v0
	v_readfirstlane_b32 m0, v0
	s_sendmsg sendmsg(MSG_INTERRUPT)
.LBB8_999:
	s_or_b64 exec, exec, s[14:15]
	s_branch .LBB8_1003
.LBB8_1000:                             ;   in Loop: Header=BB8_1003 Depth=1
	s_or_b64 exec, exec, s[14:15]
	v_readfirstlane_b32 s11, v0
	s_cmp_eq_u32 s11, 0
	s_cbranch_scc1 .LBB8_1002
; %bb.1001:                             ;   in Loop: Header=BB8_1003 Depth=1
	s_sleep 1
	s_cbranch_execnz .LBB8_1003
	s_branch .LBB8_1005
.LBB8_1002:
	s_branch .LBB8_1005
.LBB8_1003:                             ; =>This Inner Loop Header: Depth=1
	v_mov_b32_e32 v0, 1
	s_and_saveexec_b64 s[14:15], s[6:7]
	s_cbranch_execz .LBB8_1000
; %bb.1004:                             ;   in Loop: Header=BB8_1003 Depth=1
	global_load_dword v0, v[10:11], off offset:20 glc
	s_waitcnt vmcnt(0)
	buffer_wbinvl1_vol
	v_and_b32_e32 v0, 1, v0
	s_branch .LBB8_1000
.LBB8_1005:
	s_and_saveexec_b64 s[14:15], s[6:7]
	s_cbranch_execz .LBB8_1008
; %bb.1006:
	v_mov_b32_e32 v6, 0
	global_load_dwordx2 v[2:3], v6, s[50:51] offset:40
	global_load_dwordx2 v[7:8], v6, s[50:51] offset:24 glc
	global_load_dwordx2 v[4:5], v6, s[50:51]
	v_mov_b32_e32 v1, s13
	s_mov_b64 s[6:7], 0
	s_waitcnt vmcnt(2)
	v_add_co_u32_e32 v9, vcc, 1, v2
	v_addc_co_u32_e32 v10, vcc, 0, v3, vcc
	v_add_co_u32_e32 v0, vcc, s12, v9
	v_addc_co_u32_e32 v1, vcc, v10, v1, vcc
	v_cmp_eq_u64_e32 vcc, 0, v[0:1]
	v_cndmask_b32_e32 v1, v1, v10, vcc
	v_cndmask_b32_e32 v0, v0, v9, vcc
	v_and_b32_e32 v3, v1, v3
	v_and_b32_e32 v2, v0, v2
	v_mul_lo_u32 v3, v3, 24
	v_mul_hi_u32 v9, v2, 24
	v_mul_lo_u32 v10, v2, 24
	s_waitcnt vmcnt(1)
	v_mov_b32_e32 v2, v7
	v_add_u32_e32 v3, v9, v3
	s_waitcnt vmcnt(0)
	v_add_co_u32_e32 v4, vcc, v4, v10
	v_addc_co_u32_e32 v5, vcc, v5, v3, vcc
	global_store_dwordx2 v[4:5], v[7:8], off
	v_mov_b32_e32 v3, v8
	s_waitcnt vmcnt(0)
	global_atomic_cmpswap_x2 v[2:3], v6, v[0:3], s[50:51] offset:24 glc
	s_waitcnt vmcnt(0)
	v_cmp_ne_u64_e32 vcc, v[2:3], v[7:8]
	s_and_b64 exec, exec, vcc
	s_cbranch_execz .LBB8_1008
.LBB8_1007:                             ; =>This Inner Loop Header: Depth=1
	s_sleep 1
	global_store_dwordx2 v[4:5], v[2:3], off
	s_waitcnt vmcnt(0)
	global_atomic_cmpswap_x2 v[7:8], v6, v[0:3], s[50:51] offset:24 glc
	s_waitcnt vmcnt(0)
	v_cmp_eq_u64_e32 vcc, v[7:8], v[2:3]
	v_mov_b32_e32 v2, v7
	s_or_b64 s[6:7], vcc, s[6:7]
	v_mov_b32_e32 v3, v8
	s_andn2_b64 exec, exec, s[6:7]
	s_cbranch_execnz .LBB8_1007
.LBB8_1008:
	s_or_b64 exec, exec, s[14:15]
	v_readfirstlane_b32 s6, v43
	v_mov_b32_e32 v5, 0
	v_mov_b32_e32 v6, 0
	v_cmp_eq_u32_e64 s[6:7], s6, v43
	s_and_saveexec_b64 s[12:13], s[6:7]
	s_cbranch_execz .LBB8_1014
; %bb.1009:
	v_mov_b32_e32 v0, 0
	global_load_dwordx2 v[3:4], v0, s[50:51] offset:24 glc
	s_waitcnt vmcnt(0)
	buffer_wbinvl1_vol
	global_load_dwordx2 v[1:2], v0, s[50:51] offset:40
	global_load_dwordx2 v[5:6], v0, s[50:51]
	s_waitcnt vmcnt(1)
	v_and_b32_e32 v1, v1, v3
	v_and_b32_e32 v2, v2, v4
	v_mul_lo_u32 v2, v2, 24
	v_mul_hi_u32 v7, v1, 24
	v_mul_lo_u32 v1, v1, 24
	v_add_u32_e32 v2, v7, v2
	s_waitcnt vmcnt(0)
	v_add_co_u32_e32 v1, vcc, v5, v1
	v_addc_co_u32_e32 v2, vcc, v6, v2, vcc
	global_load_dwordx2 v[1:2], v[1:2], off glc
	s_waitcnt vmcnt(0)
	global_atomic_cmpswap_x2 v[5:6], v0, v[1:4], s[50:51] offset:24 glc
	s_waitcnt vmcnt(0)
	buffer_wbinvl1_vol
	v_cmp_ne_u64_e32 vcc, v[5:6], v[3:4]
	s_and_saveexec_b64 s[14:15], vcc
	s_cbranch_execz .LBB8_1013
; %bb.1010:
	s_mov_b64 s[16:17], 0
.LBB8_1011:                             ; =>This Inner Loop Header: Depth=1
	s_sleep 1
	global_load_dwordx2 v[1:2], v0, s[50:51] offset:40
	global_load_dwordx2 v[7:8], v0, s[50:51]
	v_mov_b32_e32 v3, v5
	v_mov_b32_e32 v4, v6
	s_waitcnt vmcnt(1)
	v_and_b32_e32 v1, v1, v3
	s_waitcnt vmcnt(0)
	v_mad_u64_u32 v[5:6], s[18:19], v1, 24, v[7:8]
	v_and_b32_e32 v2, v2, v4
	v_mov_b32_e32 v1, v6
	v_mad_u64_u32 v[1:2], s[18:19], v2, 24, v[1:2]
	v_mov_b32_e32 v6, v1
	global_load_dwordx2 v[1:2], v[5:6], off glc
	s_waitcnt vmcnt(0)
	global_atomic_cmpswap_x2 v[5:6], v0, v[1:4], s[50:51] offset:24 glc
	s_waitcnt vmcnt(0)
	buffer_wbinvl1_vol
	v_cmp_eq_u64_e32 vcc, v[5:6], v[3:4]
	s_or_b64 s[16:17], vcc, s[16:17]
	s_andn2_b64 exec, exec, s[16:17]
	s_cbranch_execnz .LBB8_1011
; %bb.1012:
	s_or_b64 exec, exec, s[16:17]
.LBB8_1013:
	s_or_b64 exec, exec, s[14:15]
.LBB8_1014:
	s_or_b64 exec, exec, s[12:13]
	v_mov_b32_e32 v4, 0
	global_load_dwordx2 v[7:8], v4, s[50:51] offset:40
	global_load_dwordx4 v[0:3], v4, s[50:51]
	v_readfirstlane_b32 s12, v5
	v_readfirstlane_b32 s13, v6
	s_mov_b64 s[14:15], exec
	s_waitcnt vmcnt(1)
	v_readfirstlane_b32 s16, v7
	v_readfirstlane_b32 s17, v8
	s_and_b64 s[16:17], s[12:13], s[16:17]
	s_mul_i32 s11, s17, 24
	s_mul_hi_u32 s18, s16, 24
	s_mul_i32 s19, s16, 24
	s_add_i32 s11, s18, s11
	v_mov_b32_e32 v5, s11
	s_waitcnt vmcnt(0)
	v_add_co_u32_e32 v7, vcc, s19, v0
	v_addc_co_u32_e32 v8, vcc, v1, v5, vcc
	s_and_saveexec_b64 s[18:19], s[6:7]
	s_cbranch_execz .LBB8_1016
; %bb.1015:
	v_mov_b32_e32 v9, s14
	v_mov_b32_e32 v10, s15
	;; [unrolled: 1-line block ×4, first 2 shown]
	global_store_dwordx4 v[7:8], v[9:12], off offset:8
.LBB8_1016:
	s_or_b64 exec, exec, s[18:19]
	s_lshl_b64 s[14:15], s[16:17], 12
	v_mov_b32_e32 v5, s15
	v_add_co_u32_e32 v2, vcc, s14, v2
	v_addc_co_u32_e32 v11, vcc, v3, v5, vcc
	s_mov_b32 s16, 0
	v_mov_b32_e32 v3, 33
	v_mov_b32_e32 v5, v4
	;; [unrolled: 1-line block ×3, first 2 shown]
	v_readfirstlane_b32 s14, v2
	v_readfirstlane_b32 s15, v11
	v_add_co_u32_e32 v9, vcc, v2, v42
	s_mov_b32 s17, s16
	s_mov_b32 s18, s16
	;; [unrolled: 1-line block ×3, first 2 shown]
	s_nop 0
	global_store_dwordx4 v42, v[3:6], s[14:15]
	v_mov_b32_e32 v2, s16
	v_addc_co_u32_e32 v10, vcc, 0, v11, vcc
	v_mov_b32_e32 v3, s17
	v_mov_b32_e32 v4, s18
	;; [unrolled: 1-line block ×3, first 2 shown]
	global_store_dwordx4 v42, v[2:5], s[14:15] offset:16
	global_store_dwordx4 v42, v[2:5], s[14:15] offset:32
	;; [unrolled: 1-line block ×3, first 2 shown]
	s_and_saveexec_b64 s[14:15], s[6:7]
	s_cbranch_execz .LBB8_1024
; %bb.1017:
	v_mov_b32_e32 v6, 0
	global_load_dwordx2 v[13:14], v6, s[50:51] offset:32 glc
	global_load_dwordx2 v[2:3], v6, s[50:51] offset:40
	v_mov_b32_e32 v11, s12
	v_mov_b32_e32 v12, s13
	s_waitcnt vmcnt(0)
	v_readfirstlane_b32 s16, v2
	v_readfirstlane_b32 s17, v3
	s_and_b64 s[16:17], s[16:17], s[12:13]
	s_mul_i32 s11, s17, 24
	s_mul_hi_u32 s17, s16, 24
	s_mul_i32 s16, s16, 24
	s_add_i32 s11, s17, s11
	v_mov_b32_e32 v2, s11
	v_add_co_u32_e32 v4, vcc, s16, v0
	v_addc_co_u32_e32 v5, vcc, v1, v2, vcc
	global_store_dwordx2 v[4:5], v[13:14], off
	s_waitcnt vmcnt(0)
	global_atomic_cmpswap_x2 v[2:3], v6, v[11:14], s[50:51] offset:32 glc
	s_waitcnt vmcnt(0)
	v_cmp_ne_u64_e32 vcc, v[2:3], v[13:14]
	s_and_saveexec_b64 s[16:17], vcc
	s_cbranch_execz .LBB8_1020
; %bb.1018:
	s_mov_b64 s[18:19], 0
.LBB8_1019:                             ; =>This Inner Loop Header: Depth=1
	s_sleep 1
	global_store_dwordx2 v[4:5], v[2:3], off
	v_mov_b32_e32 v0, s12
	v_mov_b32_e32 v1, s13
	s_waitcnt vmcnt(0)
	global_atomic_cmpswap_x2 v[0:1], v6, v[0:3], s[50:51] offset:32 glc
	s_waitcnt vmcnt(0)
	v_cmp_eq_u64_e32 vcc, v[0:1], v[2:3]
	v_mov_b32_e32 v3, v1
	s_or_b64 s[18:19], vcc, s[18:19]
	v_mov_b32_e32 v2, v0
	s_andn2_b64 exec, exec, s[18:19]
	s_cbranch_execnz .LBB8_1019
.LBB8_1020:
	s_or_b64 exec, exec, s[16:17]
	v_mov_b32_e32 v3, 0
	global_load_dwordx2 v[0:1], v3, s[50:51] offset:16
	s_mov_b64 s[16:17], exec
	v_mbcnt_lo_u32_b32 v2, s16, 0
	v_mbcnt_hi_u32_b32 v2, s17, v2
	v_cmp_eq_u32_e32 vcc, 0, v2
	s_and_saveexec_b64 s[18:19], vcc
	s_cbranch_execz .LBB8_1022
; %bb.1021:
	s_bcnt1_i32_b64 s11, s[16:17]
	v_mov_b32_e32 v2, s11
	s_waitcnt vmcnt(0)
	global_atomic_add_x2 v[0:1], v[2:3], off offset:8
.LBB8_1022:
	s_or_b64 exec, exec, s[18:19]
	s_waitcnt vmcnt(0)
	global_load_dwordx2 v[2:3], v[0:1], off offset:16
	s_waitcnt vmcnt(0)
	v_cmp_eq_u64_e32 vcc, 0, v[2:3]
	s_cbranch_vccnz .LBB8_1024
; %bb.1023:
	global_load_dword v0, v[0:1], off offset:24
	v_mov_b32_e32 v1, 0
	s_waitcnt vmcnt(0)
	global_store_dwordx2 v[2:3], v[0:1], off
	v_and_b32_e32 v0, 0xffffff, v0
	v_readfirstlane_b32 m0, v0
	s_sendmsg sendmsg(MSG_INTERRUPT)
.LBB8_1024:
	s_or_b64 exec, exec, s[14:15]
	s_branch .LBB8_1028
.LBB8_1025:                             ;   in Loop: Header=BB8_1028 Depth=1
	s_or_b64 exec, exec, s[14:15]
	v_readfirstlane_b32 s11, v0
	s_cmp_eq_u32 s11, 0
	s_cbranch_scc1 .LBB8_1027
; %bb.1026:                             ;   in Loop: Header=BB8_1028 Depth=1
	s_sleep 1
	s_cbranch_execnz .LBB8_1028
	s_branch .LBB8_1030
.LBB8_1027:
	s_branch .LBB8_1030
.LBB8_1028:                             ; =>This Inner Loop Header: Depth=1
	v_mov_b32_e32 v0, 1
	s_and_saveexec_b64 s[14:15], s[6:7]
	s_cbranch_execz .LBB8_1025
; %bb.1029:                             ;   in Loop: Header=BB8_1028 Depth=1
	global_load_dword v0, v[7:8], off offset:20 glc
	s_waitcnt vmcnt(0)
	buffer_wbinvl1_vol
	v_and_b32_e32 v0, 1, v0
	s_branch .LBB8_1025
.LBB8_1030:
	global_load_dwordx2 v[0:1], v[9:10], off
	s_and_saveexec_b64 s[14:15], s[6:7]
	s_cbranch_execz .LBB8_1033
; %bb.1031:
	v_mov_b32_e32 v8, 0
	global_load_dwordx2 v[4:5], v8, s[50:51] offset:40
	global_load_dwordx2 v[9:10], v8, s[50:51] offset:24 glc
	global_load_dwordx2 v[6:7], v8, s[50:51]
	v_mov_b32_e32 v3, s13
	s_mov_b64 s[6:7], 0
	s_waitcnt vmcnt(2)
	v_add_co_u32_e32 v11, vcc, 1, v4
	v_addc_co_u32_e32 v12, vcc, 0, v5, vcc
	v_add_co_u32_e32 v2, vcc, s12, v11
	v_addc_co_u32_e32 v3, vcc, v12, v3, vcc
	v_cmp_eq_u64_e32 vcc, 0, v[2:3]
	v_cndmask_b32_e32 v3, v3, v12, vcc
	v_cndmask_b32_e32 v2, v2, v11, vcc
	v_and_b32_e32 v5, v3, v5
	v_and_b32_e32 v4, v2, v4
	v_mul_lo_u32 v5, v5, 24
	v_mul_hi_u32 v11, v4, 24
	v_mul_lo_u32 v12, v4, 24
	s_waitcnt vmcnt(1)
	v_mov_b32_e32 v4, v9
	v_add_u32_e32 v5, v11, v5
	s_waitcnt vmcnt(0)
	v_add_co_u32_e32 v6, vcc, v6, v12
	v_addc_co_u32_e32 v7, vcc, v7, v5, vcc
	global_store_dwordx2 v[6:7], v[9:10], off
	v_mov_b32_e32 v5, v10
	s_waitcnt vmcnt(0)
	global_atomic_cmpswap_x2 v[4:5], v8, v[2:5], s[50:51] offset:24 glc
	s_waitcnt vmcnt(0)
	v_cmp_ne_u64_e32 vcc, v[4:5], v[9:10]
	s_and_b64 exec, exec, vcc
	s_cbranch_execz .LBB8_1033
.LBB8_1032:                             ; =>This Inner Loop Header: Depth=1
	s_sleep 1
	global_store_dwordx2 v[6:7], v[4:5], off
	s_waitcnt vmcnt(0)
	global_atomic_cmpswap_x2 v[9:10], v8, v[2:5], s[50:51] offset:24 glc
	s_waitcnt vmcnt(0)
	v_cmp_eq_u64_e32 vcc, v[9:10], v[4:5]
	v_mov_b32_e32 v4, v9
	s_or_b64 s[6:7], vcc, s[6:7]
	v_mov_b32_e32 v5, v10
	s_andn2_b64 exec, exec, s[6:7]
	s_cbranch_execnz .LBB8_1032
.LBB8_1033:
	s_or_b64 exec, exec, s[14:15]
	s_and_b64 vcc, exec, s[54:55]
	s_cbranch_vccz .LBB8_1118
; %bb.1034:
	s_waitcnt vmcnt(0)
	v_and_b32_e32 v31, 2, v0
	v_mov_b32_e32 v28, 0
	v_and_b32_e32 v2, -3, v0
	v_mov_b32_e32 v3, v1
	s_mov_b64 s[14:15], 3
	v_mov_b32_e32 v6, 2
	v_mov_b32_e32 v7, 1
	s_getpc_b64 s[12:13]
	s_add_u32 s12, s12, .str.6@rel32@lo+4
	s_addc_u32 s13, s13, .str.6@rel32@hi+12
	s_branch .LBB8_1036
.LBB8_1035:                             ;   in Loop: Header=BB8_1036 Depth=1
	s_or_b64 exec, exec, s[20:21]
	s_sub_u32 s14, s14, s16
	s_subb_u32 s15, s15, s17
	s_add_u32 s12, s12, s16
	s_addc_u32 s13, s13, s17
	s_cmp_lg_u64 s[14:15], 0
	s_cbranch_scc0 .LBB8_1117
.LBB8_1036:                             ; =>This Loop Header: Depth=1
                                        ;     Child Loop BB8_1039 Depth 2
                                        ;     Child Loop BB8_1046 Depth 2
	;; [unrolled: 1-line block ×11, first 2 shown]
	v_cmp_lt_u64_e64 s[6:7], s[14:15], 56
	v_cmp_gt_u64_e64 s[18:19], s[14:15], 7
	s_and_b64 s[6:7], s[6:7], exec
	s_cselect_b32 s17, s15, 0
	s_cselect_b32 s16, s14, 56
	s_and_b64 vcc, exec, s[18:19]
	s_cbranch_vccnz .LBB8_1041
; %bb.1037:                             ;   in Loop: Header=BB8_1036 Depth=1
	v_mov_b32_e32 v10, 0
	s_cmp_eq_u64 s[14:15], 0
	v_mov_b32_e32 v11, 0
	s_mov_b64 s[6:7], 0
	s_cbranch_scc1 .LBB8_1040
; %bb.1038:                             ;   in Loop: Header=BB8_1036 Depth=1
	v_mov_b32_e32 v10, 0
	s_lshl_b64 s[18:19], s[16:17], 3
	s_mov_b64 s[20:21], 0
	v_mov_b32_e32 v11, 0
	s_mov_b64 s[22:23], s[12:13]
.LBB8_1039:                             ;   Parent Loop BB8_1036 Depth=1
                                        ; =>  This Inner Loop Header: Depth=2
	global_load_ubyte v4, v28, s[22:23]
	s_waitcnt vmcnt(0)
	v_and_b32_e32 v27, 0xffff, v4
	v_lshlrev_b64 v[4:5], s20, v[27:28]
	s_add_u32 s20, s20, 8
	s_addc_u32 s21, s21, 0
	s_add_u32 s22, s22, 1
	s_addc_u32 s23, s23, 0
	v_or_b32_e32 v10, v4, v10
	s_cmp_lg_u32 s18, s20
	v_or_b32_e32 v11, v5, v11
	s_cbranch_scc1 .LBB8_1039
.LBB8_1040:                             ;   in Loop: Header=BB8_1036 Depth=1
	s_mov_b32 s11, 0
	s_andn2_b64 vcc, exec, s[6:7]
	s_mov_b64 s[6:7], s[12:13]
	s_cbranch_vccz .LBB8_1042
	s_branch .LBB8_1043
.LBB8_1041:                             ;   in Loop: Header=BB8_1036 Depth=1
                                        ; implicit-def: $vgpr10_vgpr11
                                        ; implicit-def: $sgpr11
	s_mov_b64 s[6:7], s[12:13]
.LBB8_1042:                             ;   in Loop: Header=BB8_1036 Depth=1
	global_load_dwordx2 v[10:11], v28, s[12:13]
	s_add_i32 s11, s16, -8
	s_add_u32 s6, s12, 8
	s_addc_u32 s7, s13, 0
.LBB8_1043:                             ;   in Loop: Header=BB8_1036 Depth=1
	s_cmp_gt_u32 s11, 7
	s_cbranch_scc1 .LBB8_1047
; %bb.1044:                             ;   in Loop: Header=BB8_1036 Depth=1
	s_cmp_eq_u32 s11, 0
	s_cbranch_scc1 .LBB8_1048
; %bb.1045:                             ;   in Loop: Header=BB8_1036 Depth=1
	v_mov_b32_e32 v12, 0
	s_mov_b64 s[18:19], 0
	v_mov_b32_e32 v13, 0
	s_mov_b64 s[20:21], 0
.LBB8_1046:                             ;   Parent Loop BB8_1036 Depth=1
                                        ; =>  This Inner Loop Header: Depth=2
	s_add_u32 s22, s6, s20
	s_addc_u32 s23, s7, s21
	global_load_ubyte v4, v28, s[22:23]
	s_add_u32 s20, s20, 1
	s_addc_u32 s21, s21, 0
	s_waitcnt vmcnt(0)
	v_and_b32_e32 v27, 0xffff, v4
	v_lshlrev_b64 v[4:5], s18, v[27:28]
	s_add_u32 s18, s18, 8
	s_addc_u32 s19, s19, 0
	v_or_b32_e32 v12, v4, v12
	s_cmp_lg_u32 s11, s20
	v_or_b32_e32 v13, v5, v13
	s_cbranch_scc1 .LBB8_1046
	s_branch .LBB8_1049
.LBB8_1047:                             ;   in Loop: Header=BB8_1036 Depth=1
                                        ; implicit-def: $vgpr12_vgpr13
                                        ; implicit-def: $sgpr22
	s_branch .LBB8_1050
.LBB8_1048:                             ;   in Loop: Header=BB8_1036 Depth=1
	v_mov_b32_e32 v12, 0
	v_mov_b32_e32 v13, 0
.LBB8_1049:                             ;   in Loop: Header=BB8_1036 Depth=1
	s_mov_b32 s22, 0
	s_cbranch_execnz .LBB8_1051
.LBB8_1050:                             ;   in Loop: Header=BB8_1036 Depth=1
	global_load_dwordx2 v[12:13], v28, s[6:7]
	s_add_i32 s22, s11, -8
	s_add_u32 s6, s6, 8
	s_addc_u32 s7, s7, 0
.LBB8_1051:                             ;   in Loop: Header=BB8_1036 Depth=1
	s_cmp_gt_u32 s22, 7
	s_cbranch_scc1 .LBB8_1055
; %bb.1052:                             ;   in Loop: Header=BB8_1036 Depth=1
	s_cmp_eq_u32 s22, 0
	s_cbranch_scc1 .LBB8_1056
; %bb.1053:                             ;   in Loop: Header=BB8_1036 Depth=1
	v_mov_b32_e32 v14, 0
	s_mov_b64 s[18:19], 0
	v_mov_b32_e32 v15, 0
	s_mov_b64 s[20:21], 0
.LBB8_1054:                             ;   Parent Loop BB8_1036 Depth=1
                                        ; =>  This Inner Loop Header: Depth=2
	s_add_u32 s24, s6, s20
	s_addc_u32 s25, s7, s21
	global_load_ubyte v4, v28, s[24:25]
	s_add_u32 s20, s20, 1
	s_addc_u32 s21, s21, 0
	s_waitcnt vmcnt(0)
	v_and_b32_e32 v27, 0xffff, v4
	v_lshlrev_b64 v[4:5], s18, v[27:28]
	s_add_u32 s18, s18, 8
	s_addc_u32 s19, s19, 0
	v_or_b32_e32 v14, v4, v14
	s_cmp_lg_u32 s22, s20
	v_or_b32_e32 v15, v5, v15
	s_cbranch_scc1 .LBB8_1054
	s_branch .LBB8_1057
.LBB8_1055:                             ;   in Loop: Header=BB8_1036 Depth=1
                                        ; implicit-def: $sgpr11
	s_branch .LBB8_1058
.LBB8_1056:                             ;   in Loop: Header=BB8_1036 Depth=1
	v_mov_b32_e32 v14, 0
	v_mov_b32_e32 v15, 0
.LBB8_1057:                             ;   in Loop: Header=BB8_1036 Depth=1
	s_mov_b32 s11, 0
	s_cbranch_execnz .LBB8_1059
.LBB8_1058:                             ;   in Loop: Header=BB8_1036 Depth=1
	global_load_dwordx2 v[14:15], v28, s[6:7]
	s_add_i32 s11, s22, -8
	s_add_u32 s6, s6, 8
	s_addc_u32 s7, s7, 0
.LBB8_1059:                             ;   in Loop: Header=BB8_1036 Depth=1
	s_cmp_gt_u32 s11, 7
	s_cbranch_scc1 .LBB8_1063
; %bb.1060:                             ;   in Loop: Header=BB8_1036 Depth=1
	s_cmp_eq_u32 s11, 0
	s_cbranch_scc1 .LBB8_1064
; %bb.1061:                             ;   in Loop: Header=BB8_1036 Depth=1
	v_mov_b32_e32 v16, 0
	s_mov_b64 s[18:19], 0
	v_mov_b32_e32 v17, 0
	s_mov_b64 s[20:21], 0
.LBB8_1062:                             ;   Parent Loop BB8_1036 Depth=1
                                        ; =>  This Inner Loop Header: Depth=2
	s_add_u32 s22, s6, s20
	s_addc_u32 s23, s7, s21
	global_load_ubyte v4, v28, s[22:23]
	s_add_u32 s20, s20, 1
	s_addc_u32 s21, s21, 0
	s_waitcnt vmcnt(0)
	v_and_b32_e32 v27, 0xffff, v4
	v_lshlrev_b64 v[4:5], s18, v[27:28]
	s_add_u32 s18, s18, 8
	s_addc_u32 s19, s19, 0
	v_or_b32_e32 v16, v4, v16
	s_cmp_lg_u32 s11, s20
	v_or_b32_e32 v17, v5, v17
	s_cbranch_scc1 .LBB8_1062
	s_branch .LBB8_1065
.LBB8_1063:                             ;   in Loop: Header=BB8_1036 Depth=1
                                        ; implicit-def: $vgpr16_vgpr17
                                        ; implicit-def: $sgpr22
	s_branch .LBB8_1066
.LBB8_1064:                             ;   in Loop: Header=BB8_1036 Depth=1
	v_mov_b32_e32 v16, 0
	v_mov_b32_e32 v17, 0
.LBB8_1065:                             ;   in Loop: Header=BB8_1036 Depth=1
	s_mov_b32 s22, 0
	s_cbranch_execnz .LBB8_1067
.LBB8_1066:                             ;   in Loop: Header=BB8_1036 Depth=1
	global_load_dwordx2 v[16:17], v28, s[6:7]
	s_add_i32 s22, s11, -8
	s_add_u32 s6, s6, 8
	s_addc_u32 s7, s7, 0
.LBB8_1067:                             ;   in Loop: Header=BB8_1036 Depth=1
	s_cmp_gt_u32 s22, 7
	s_cbranch_scc1 .LBB8_1071
; %bb.1068:                             ;   in Loop: Header=BB8_1036 Depth=1
	s_cmp_eq_u32 s22, 0
	s_cbranch_scc1 .LBB8_1072
; %bb.1069:                             ;   in Loop: Header=BB8_1036 Depth=1
	v_mov_b32_e32 v18, 0
	s_mov_b64 s[18:19], 0
	v_mov_b32_e32 v19, 0
	s_mov_b64 s[20:21], 0
.LBB8_1070:                             ;   Parent Loop BB8_1036 Depth=1
                                        ; =>  This Inner Loop Header: Depth=2
	s_add_u32 s24, s6, s20
	s_addc_u32 s25, s7, s21
	global_load_ubyte v4, v28, s[24:25]
	s_add_u32 s20, s20, 1
	s_addc_u32 s21, s21, 0
	s_waitcnt vmcnt(0)
	v_and_b32_e32 v27, 0xffff, v4
	v_lshlrev_b64 v[4:5], s18, v[27:28]
	s_add_u32 s18, s18, 8
	s_addc_u32 s19, s19, 0
	v_or_b32_e32 v18, v4, v18
	s_cmp_lg_u32 s22, s20
	v_or_b32_e32 v19, v5, v19
	s_cbranch_scc1 .LBB8_1070
	s_branch .LBB8_1073
.LBB8_1071:                             ;   in Loop: Header=BB8_1036 Depth=1
                                        ; implicit-def: $sgpr11
	s_branch .LBB8_1074
.LBB8_1072:                             ;   in Loop: Header=BB8_1036 Depth=1
	v_mov_b32_e32 v18, 0
	v_mov_b32_e32 v19, 0
.LBB8_1073:                             ;   in Loop: Header=BB8_1036 Depth=1
	s_mov_b32 s11, 0
	s_cbranch_execnz .LBB8_1075
.LBB8_1074:                             ;   in Loop: Header=BB8_1036 Depth=1
	global_load_dwordx2 v[18:19], v28, s[6:7]
	s_add_i32 s11, s22, -8
	s_add_u32 s6, s6, 8
	s_addc_u32 s7, s7, 0
.LBB8_1075:                             ;   in Loop: Header=BB8_1036 Depth=1
	s_cmp_gt_u32 s11, 7
	s_cbranch_scc1 .LBB8_1079
; %bb.1076:                             ;   in Loop: Header=BB8_1036 Depth=1
	s_cmp_eq_u32 s11, 0
	s_cbranch_scc1 .LBB8_1080
; %bb.1077:                             ;   in Loop: Header=BB8_1036 Depth=1
	v_mov_b32_e32 v20, 0
	s_mov_b64 s[18:19], 0
	v_mov_b32_e32 v21, 0
	s_mov_b64 s[20:21], 0
.LBB8_1078:                             ;   Parent Loop BB8_1036 Depth=1
                                        ; =>  This Inner Loop Header: Depth=2
	s_add_u32 s22, s6, s20
	s_addc_u32 s23, s7, s21
	global_load_ubyte v4, v28, s[22:23]
	s_add_u32 s20, s20, 1
	s_addc_u32 s21, s21, 0
	s_waitcnt vmcnt(0)
	v_and_b32_e32 v27, 0xffff, v4
	v_lshlrev_b64 v[4:5], s18, v[27:28]
	s_add_u32 s18, s18, 8
	s_addc_u32 s19, s19, 0
	v_or_b32_e32 v20, v4, v20
	s_cmp_lg_u32 s11, s20
	v_or_b32_e32 v21, v5, v21
	s_cbranch_scc1 .LBB8_1078
	s_branch .LBB8_1081
.LBB8_1079:                             ;   in Loop: Header=BB8_1036 Depth=1
                                        ; implicit-def: $vgpr20_vgpr21
                                        ; implicit-def: $sgpr22
	s_branch .LBB8_1082
.LBB8_1080:                             ;   in Loop: Header=BB8_1036 Depth=1
	v_mov_b32_e32 v20, 0
	v_mov_b32_e32 v21, 0
.LBB8_1081:                             ;   in Loop: Header=BB8_1036 Depth=1
	s_mov_b32 s22, 0
	s_cbranch_execnz .LBB8_1083
.LBB8_1082:                             ;   in Loop: Header=BB8_1036 Depth=1
	global_load_dwordx2 v[20:21], v28, s[6:7]
	s_add_i32 s22, s11, -8
	s_add_u32 s6, s6, 8
	s_addc_u32 s7, s7, 0
.LBB8_1083:                             ;   in Loop: Header=BB8_1036 Depth=1
	s_cmp_gt_u32 s22, 7
	s_cbranch_scc1 .LBB8_1087
; %bb.1084:                             ;   in Loop: Header=BB8_1036 Depth=1
	s_cmp_eq_u32 s22, 0
	s_cbranch_scc1 .LBB8_1088
; %bb.1085:                             ;   in Loop: Header=BB8_1036 Depth=1
	v_mov_b32_e32 v22, 0
	s_mov_b64 s[18:19], 0
	v_mov_b32_e32 v23, 0
	s_mov_b64 s[20:21], s[6:7]
.LBB8_1086:                             ;   Parent Loop BB8_1036 Depth=1
                                        ; =>  This Inner Loop Header: Depth=2
	global_load_ubyte v4, v28, s[20:21]
	s_add_i32 s22, s22, -1
	s_waitcnt vmcnt(0)
	v_and_b32_e32 v27, 0xffff, v4
	v_lshlrev_b64 v[4:5], s18, v[27:28]
	s_add_u32 s18, s18, 8
	s_addc_u32 s19, s19, 0
	s_add_u32 s20, s20, 1
	s_addc_u32 s21, s21, 0
	v_or_b32_e32 v22, v4, v22
	s_cmp_lg_u32 s22, 0
	v_or_b32_e32 v23, v5, v23
	s_cbranch_scc1 .LBB8_1086
	s_branch .LBB8_1089
.LBB8_1087:                             ;   in Loop: Header=BB8_1036 Depth=1
	s_branch .LBB8_1090
.LBB8_1088:                             ;   in Loop: Header=BB8_1036 Depth=1
	v_mov_b32_e32 v22, 0
	v_mov_b32_e32 v23, 0
.LBB8_1089:                             ;   in Loop: Header=BB8_1036 Depth=1
	s_cbranch_execnz .LBB8_1091
.LBB8_1090:                             ;   in Loop: Header=BB8_1036 Depth=1
	global_load_dwordx2 v[22:23], v28, s[6:7]
.LBB8_1091:                             ;   in Loop: Header=BB8_1036 Depth=1
	v_readfirstlane_b32 s6, v43
	s_waitcnt vmcnt(0)
	v_mov_b32_e32 v4, 0
	v_mov_b32_e32 v5, 0
	v_cmp_eq_u32_e64 s[6:7], s6, v43
	s_and_saveexec_b64 s[18:19], s[6:7]
	s_cbranch_execz .LBB8_1097
; %bb.1092:                             ;   in Loop: Header=BB8_1036 Depth=1
	global_load_dwordx2 v[26:27], v28, s[50:51] offset:24 glc
	s_waitcnt vmcnt(0)
	buffer_wbinvl1_vol
	global_load_dwordx2 v[4:5], v28, s[50:51] offset:40
	global_load_dwordx2 v[8:9], v28, s[50:51]
	s_waitcnt vmcnt(1)
	v_and_b32_e32 v4, v4, v26
	v_and_b32_e32 v5, v5, v27
	v_mul_lo_u32 v5, v5, 24
	v_mul_hi_u32 v24, v4, 24
	v_mul_lo_u32 v4, v4, 24
	v_add_u32_e32 v5, v24, v5
	s_waitcnt vmcnt(0)
	v_add_co_u32_e32 v4, vcc, v8, v4
	v_addc_co_u32_e32 v5, vcc, v9, v5, vcc
	global_load_dwordx2 v[24:25], v[4:5], off glc
	s_waitcnt vmcnt(0)
	global_atomic_cmpswap_x2 v[4:5], v28, v[24:27], s[50:51] offset:24 glc
	s_waitcnt vmcnt(0)
	buffer_wbinvl1_vol
	v_cmp_ne_u64_e32 vcc, v[4:5], v[26:27]
	s_and_saveexec_b64 s[20:21], vcc
	s_cbranch_execz .LBB8_1096
; %bb.1093:                             ;   in Loop: Header=BB8_1036 Depth=1
	s_mov_b64 s[22:23], 0
.LBB8_1094:                             ;   Parent Loop BB8_1036 Depth=1
                                        ; =>  This Inner Loop Header: Depth=2
	s_sleep 1
	global_load_dwordx2 v[8:9], v28, s[50:51] offset:40
	global_load_dwordx2 v[24:25], v28, s[50:51]
	v_mov_b32_e32 v27, v5
	v_mov_b32_e32 v26, v4
	s_waitcnt vmcnt(1)
	v_and_b32_e32 v4, v8, v26
	s_waitcnt vmcnt(0)
	v_mad_u64_u32 v[4:5], s[24:25], v4, 24, v[24:25]
	v_and_b32_e32 v8, v9, v27
	v_mad_u64_u32 v[8:9], s[24:25], v8, 24, v[5:6]
	v_mov_b32_e32 v5, v8
	global_load_dwordx2 v[24:25], v[4:5], off glc
	s_waitcnt vmcnt(0)
	global_atomic_cmpswap_x2 v[4:5], v28, v[24:27], s[50:51] offset:24 glc
	s_waitcnt vmcnt(0)
	buffer_wbinvl1_vol
	v_cmp_eq_u64_e32 vcc, v[4:5], v[26:27]
	s_or_b64 s[22:23], vcc, s[22:23]
	s_andn2_b64 exec, exec, s[22:23]
	s_cbranch_execnz .LBB8_1094
; %bb.1095:                             ;   in Loop: Header=BB8_1036 Depth=1
	s_or_b64 exec, exec, s[22:23]
.LBB8_1096:                             ;   in Loop: Header=BB8_1036 Depth=1
	s_or_b64 exec, exec, s[20:21]
.LBB8_1097:                             ;   in Loop: Header=BB8_1036 Depth=1
	s_or_b64 exec, exec, s[18:19]
	global_load_dwordx2 v[8:9], v28, s[50:51] offset:40
	global_load_dwordx4 v[24:27], v28, s[50:51]
	v_readfirstlane_b32 s18, v4
	v_readfirstlane_b32 s19, v5
	s_mov_b64 s[22:23], exec
	s_waitcnt vmcnt(1)
	v_readfirstlane_b32 s20, v8
	v_readfirstlane_b32 s21, v9
	s_and_b64 s[20:21], s[18:19], s[20:21]
	s_mul_i32 s11, s21, 24
	s_mul_hi_u32 s24, s20, 24
	s_mul_i32 s25, s20, 24
	s_add_i32 s11, s24, s11
	v_mov_b32_e32 v4, s11
	s_waitcnt vmcnt(0)
	v_add_co_u32_e32 v29, vcc, s25, v24
	v_addc_co_u32_e32 v30, vcc, v25, v4, vcc
	s_and_saveexec_b64 s[24:25], s[6:7]
	s_cbranch_execz .LBB8_1099
; %bb.1098:                             ;   in Loop: Header=BB8_1036 Depth=1
	v_mov_b32_e32 v4, s22
	v_mov_b32_e32 v5, s23
	global_store_dwordx4 v[29:30], v[4:7], off offset:8
.LBB8_1099:                             ;   in Loop: Header=BB8_1036 Depth=1
	s_or_b64 exec, exec, s[24:25]
	v_cmp_gt_u64_e64 vcc, s[14:15], 56
	v_or_b32_e32 v4, 0, v3
	v_cndmask_b32_e32 v9, v4, v3, vcc
	v_or_b32_e32 v3, v2, v31
	s_lshl_b32 s11, s16, 2
	v_cndmask_b32_e32 v2, v3, v2, vcc
	s_add_i32 s11, s11, 28
	s_and_b32 s11, s11, 0x1e0
	v_and_b32_e32 v2, 0xffffff1f, v2
	s_lshl_b64 s[20:21], s[20:21], 12
	v_or_b32_e32 v8, s11, v2
	v_mov_b32_e32 v2, s21
	v_add_co_u32_e32 v26, vcc, s20, v26
	v_addc_co_u32_e32 v32, vcc, v27, v2, vcc
	v_readfirstlane_b32 s20, v26
	v_readfirstlane_b32 s21, v32
	s_nop 4
	global_store_dwordx4 v42, v[8:11], s[20:21]
	global_store_dwordx4 v42, v[12:15], s[20:21] offset:16
	global_store_dwordx4 v42, v[16:19], s[20:21] offset:32
	;; [unrolled: 1-line block ×3, first 2 shown]
	s_and_saveexec_b64 s[20:21], s[6:7]
	s_cbranch_execz .LBB8_1107
; %bb.1100:                             ;   in Loop: Header=BB8_1036 Depth=1
	global_load_dwordx2 v[12:13], v28, s[50:51] offset:32 glc
	global_load_dwordx2 v[2:3], v28, s[50:51] offset:40
	v_mov_b32_e32 v10, s18
	v_mov_b32_e32 v11, s19
	s_waitcnt vmcnt(0)
	v_readfirstlane_b32 s22, v2
	v_readfirstlane_b32 s23, v3
	s_and_b64 s[22:23], s[22:23], s[18:19]
	s_mul_i32 s11, s23, 24
	s_mul_hi_u32 s23, s22, 24
	s_mul_i32 s22, s22, 24
	s_add_i32 s11, s23, s11
	v_mov_b32_e32 v2, s11
	v_add_co_u32_e32 v8, vcc, s22, v24
	v_addc_co_u32_e32 v9, vcc, v25, v2, vcc
	global_store_dwordx2 v[8:9], v[12:13], off
	s_waitcnt vmcnt(0)
	global_atomic_cmpswap_x2 v[4:5], v28, v[10:13], s[50:51] offset:32 glc
	s_waitcnt vmcnt(0)
	v_cmp_ne_u64_e32 vcc, v[4:5], v[12:13]
	s_and_saveexec_b64 s[22:23], vcc
	s_cbranch_execz .LBB8_1103
; %bb.1101:                             ;   in Loop: Header=BB8_1036 Depth=1
	s_mov_b64 s[24:25], 0
.LBB8_1102:                             ;   Parent Loop BB8_1036 Depth=1
                                        ; =>  This Inner Loop Header: Depth=2
	s_sleep 1
	global_store_dwordx2 v[8:9], v[4:5], off
	v_mov_b32_e32 v2, s18
	v_mov_b32_e32 v3, s19
	s_waitcnt vmcnt(0)
	global_atomic_cmpswap_x2 v[2:3], v28, v[2:5], s[50:51] offset:32 glc
	s_waitcnt vmcnt(0)
	v_cmp_eq_u64_e32 vcc, v[2:3], v[4:5]
	v_mov_b32_e32 v5, v3
	s_or_b64 s[24:25], vcc, s[24:25]
	v_mov_b32_e32 v4, v2
	s_andn2_b64 exec, exec, s[24:25]
	s_cbranch_execnz .LBB8_1102
.LBB8_1103:                             ;   in Loop: Header=BB8_1036 Depth=1
	s_or_b64 exec, exec, s[22:23]
	global_load_dwordx2 v[2:3], v28, s[50:51] offset:16
	s_mov_b64 s[24:25], exec
	v_mbcnt_lo_u32_b32 v4, s24, 0
	v_mbcnt_hi_u32_b32 v4, s25, v4
	v_cmp_eq_u32_e32 vcc, 0, v4
	s_and_saveexec_b64 s[22:23], vcc
	s_cbranch_execz .LBB8_1105
; %bb.1104:                             ;   in Loop: Header=BB8_1036 Depth=1
	s_bcnt1_i32_b64 s11, s[24:25]
	v_mov_b32_e32 v27, s11
	s_waitcnt vmcnt(0)
	global_atomic_add_x2 v[2:3], v[27:28], off offset:8
.LBB8_1105:                             ;   in Loop: Header=BB8_1036 Depth=1
	s_or_b64 exec, exec, s[22:23]
	s_waitcnt vmcnt(0)
	global_load_dwordx2 v[4:5], v[2:3], off offset:16
	s_waitcnt vmcnt(0)
	v_cmp_eq_u64_e32 vcc, 0, v[4:5]
	s_cbranch_vccnz .LBB8_1107
; %bb.1106:                             ;   in Loop: Header=BB8_1036 Depth=1
	global_load_dword v27, v[2:3], off offset:24
	s_waitcnt vmcnt(0)
	v_and_b32_e32 v2, 0xffffff, v27
	v_readfirstlane_b32 m0, v2
	global_store_dwordx2 v[4:5], v[27:28], off
	s_sendmsg sendmsg(MSG_INTERRUPT)
.LBB8_1107:                             ;   in Loop: Header=BB8_1036 Depth=1
	s_or_b64 exec, exec, s[20:21]
	v_add_co_u32_e32 v2, vcc, v26, v42
	v_addc_co_u32_e32 v3, vcc, 0, v32, vcc
	s_branch .LBB8_1111
.LBB8_1108:                             ;   in Loop: Header=BB8_1111 Depth=2
	s_or_b64 exec, exec, s[20:21]
	v_readfirstlane_b32 s11, v4
	s_cmp_eq_u32 s11, 0
	s_cbranch_scc1 .LBB8_1110
; %bb.1109:                             ;   in Loop: Header=BB8_1111 Depth=2
	s_sleep 1
	s_cbranch_execnz .LBB8_1111
	s_branch .LBB8_1113
.LBB8_1110:                             ;   in Loop: Header=BB8_1036 Depth=1
	s_branch .LBB8_1113
.LBB8_1111:                             ;   Parent Loop BB8_1036 Depth=1
                                        ; =>  This Inner Loop Header: Depth=2
	v_mov_b32_e32 v4, 1
	s_and_saveexec_b64 s[20:21], s[6:7]
	s_cbranch_execz .LBB8_1108
; %bb.1112:                             ;   in Loop: Header=BB8_1111 Depth=2
	global_load_dword v4, v[29:30], off offset:20 glc
	s_waitcnt vmcnt(0)
	buffer_wbinvl1_vol
	v_and_b32_e32 v4, 1, v4
	s_branch .LBB8_1108
.LBB8_1113:                             ;   in Loop: Header=BB8_1036 Depth=1
	global_load_dwordx4 v[2:5], v[2:3], off
	s_and_saveexec_b64 s[20:21], s[6:7]
	s_cbranch_execz .LBB8_1035
; %bb.1114:                             ;   in Loop: Header=BB8_1036 Depth=1
	global_load_dwordx2 v[4:5], v28, s[50:51] offset:40
	global_load_dwordx2 v[12:13], v28, s[50:51] offset:24 glc
	global_load_dwordx2 v[14:15], v28, s[50:51]
	v_mov_b32_e32 v9, s19
	s_waitcnt vmcnt(2)
	v_add_co_u32_e32 v10, vcc, 1, v4
	v_addc_co_u32_e32 v11, vcc, 0, v5, vcc
	v_add_co_u32_e32 v8, vcc, s18, v10
	v_addc_co_u32_e32 v9, vcc, v11, v9, vcc
	v_cmp_eq_u64_e32 vcc, 0, v[8:9]
	v_cndmask_b32_e32 v9, v9, v11, vcc
	v_cndmask_b32_e32 v8, v8, v10, vcc
	v_and_b32_e32 v5, v9, v5
	v_and_b32_e32 v4, v8, v4
	v_mul_lo_u32 v5, v5, 24
	v_mul_hi_u32 v11, v4, 24
	v_mul_lo_u32 v4, v4, 24
	s_waitcnt vmcnt(1)
	v_mov_b32_e32 v10, v12
	v_add_u32_e32 v5, v11, v5
	s_waitcnt vmcnt(0)
	v_add_co_u32_e32 v4, vcc, v14, v4
	v_addc_co_u32_e32 v5, vcc, v15, v5, vcc
	global_store_dwordx2 v[4:5], v[12:13], off
	v_mov_b32_e32 v11, v13
	s_waitcnt vmcnt(0)
	global_atomic_cmpswap_x2 v[10:11], v28, v[8:11], s[50:51] offset:24 glc
	s_waitcnt vmcnt(0)
	v_cmp_ne_u64_e32 vcc, v[10:11], v[12:13]
	s_and_b64 exec, exec, vcc
	s_cbranch_execz .LBB8_1035
; %bb.1115:                             ;   in Loop: Header=BB8_1036 Depth=1
	s_mov_b64 s[6:7], 0
.LBB8_1116:                             ;   Parent Loop BB8_1036 Depth=1
                                        ; =>  This Inner Loop Header: Depth=2
	s_sleep 1
	global_store_dwordx2 v[4:5], v[10:11], off
	s_waitcnt vmcnt(0)
	global_atomic_cmpswap_x2 v[12:13], v28, v[8:11], s[50:51] offset:24 glc
	s_waitcnt vmcnt(0)
	v_cmp_eq_u64_e32 vcc, v[12:13], v[10:11]
	v_mov_b32_e32 v10, v12
	s_or_b64 s[6:7], vcc, s[6:7]
	v_mov_b32_e32 v11, v13
	s_andn2_b64 exec, exec, s[6:7]
	s_cbranch_execnz .LBB8_1116
	s_branch .LBB8_1035
.LBB8_1117:
	s_mov_b64 s[6:7], 0
	s_branch .LBB8_1119
.LBB8_1118:
	s_mov_b64 s[6:7], -1
                                        ; implicit-def: $vgpr2_vgpr3
.LBB8_1119:
	s_and_b64 vcc, exec, s[6:7]
	s_cbranch_vccz .LBB8_1146
; %bb.1120:
	v_readfirstlane_b32 s6, v43
	v_mov_b32_e32 v8, 0
	v_mov_b32_e32 v9, 0
	v_cmp_eq_u32_e64 s[6:7], s6, v43
	s_and_saveexec_b64 s[12:13], s[6:7]
	s_cbranch_execz .LBB8_1126
; %bb.1121:
	s_waitcnt vmcnt(0)
	v_mov_b32_e32 v2, 0
	global_load_dwordx2 v[5:6], v2, s[50:51] offset:24 glc
	s_waitcnt vmcnt(0)
	buffer_wbinvl1_vol
	global_load_dwordx2 v[3:4], v2, s[50:51] offset:40
	global_load_dwordx2 v[7:8], v2, s[50:51]
	s_waitcnt vmcnt(1)
	v_and_b32_e32 v3, v3, v5
	v_and_b32_e32 v4, v4, v6
	v_mul_lo_u32 v4, v4, 24
	v_mul_hi_u32 v9, v3, 24
	v_mul_lo_u32 v3, v3, 24
	v_add_u32_e32 v4, v9, v4
	s_waitcnt vmcnt(0)
	v_add_co_u32_e32 v3, vcc, v7, v3
	v_addc_co_u32_e32 v4, vcc, v8, v4, vcc
	global_load_dwordx2 v[3:4], v[3:4], off glc
	s_waitcnt vmcnt(0)
	global_atomic_cmpswap_x2 v[8:9], v2, v[3:6], s[50:51] offset:24 glc
	s_waitcnt vmcnt(0)
	buffer_wbinvl1_vol
	v_cmp_ne_u64_e32 vcc, v[8:9], v[5:6]
	s_and_saveexec_b64 s[14:15], vcc
	s_cbranch_execz .LBB8_1125
; %bb.1122:
	s_mov_b64 s[16:17], 0
.LBB8_1123:                             ; =>This Inner Loop Header: Depth=1
	s_sleep 1
	global_load_dwordx2 v[3:4], v2, s[50:51] offset:40
	global_load_dwordx2 v[10:11], v2, s[50:51]
	v_mov_b32_e32 v5, v8
	v_mov_b32_e32 v6, v9
	s_waitcnt vmcnt(1)
	v_and_b32_e32 v3, v3, v5
	s_waitcnt vmcnt(0)
	v_mad_u64_u32 v[7:8], s[18:19], v3, 24, v[10:11]
	v_and_b32_e32 v4, v4, v6
	v_mov_b32_e32 v3, v8
	v_mad_u64_u32 v[3:4], s[18:19], v4, 24, v[3:4]
	v_mov_b32_e32 v8, v3
	global_load_dwordx2 v[3:4], v[7:8], off glc
	s_waitcnt vmcnt(0)
	global_atomic_cmpswap_x2 v[8:9], v2, v[3:6], s[50:51] offset:24 glc
	s_waitcnt vmcnt(0)
	buffer_wbinvl1_vol
	v_cmp_eq_u64_e32 vcc, v[8:9], v[5:6]
	s_or_b64 s[16:17], vcc, s[16:17]
	s_andn2_b64 exec, exec, s[16:17]
	s_cbranch_execnz .LBB8_1123
; %bb.1124:
	s_or_b64 exec, exec, s[16:17]
.LBB8_1125:
	s_or_b64 exec, exec, s[14:15]
.LBB8_1126:
	s_or_b64 exec, exec, s[12:13]
	s_waitcnt vmcnt(0)
	v_mov_b32_e32 v2, 0
	global_load_dwordx2 v[10:11], v2, s[50:51] offset:40
	global_load_dwordx4 v[4:7], v2, s[50:51]
	v_readfirstlane_b32 s12, v8
	v_readfirstlane_b32 s13, v9
	s_mov_b64 s[14:15], exec
	s_waitcnt vmcnt(1)
	v_readfirstlane_b32 s16, v10
	v_readfirstlane_b32 s17, v11
	s_and_b64 s[16:17], s[12:13], s[16:17]
	s_mul_i32 s11, s17, 24
	s_mul_hi_u32 s18, s16, 24
	s_mul_i32 s19, s16, 24
	s_add_i32 s11, s18, s11
	v_mov_b32_e32 v3, s11
	s_waitcnt vmcnt(0)
	v_add_co_u32_e32 v8, vcc, s19, v4
	v_addc_co_u32_e32 v9, vcc, v5, v3, vcc
	s_and_saveexec_b64 s[18:19], s[6:7]
	s_cbranch_execz .LBB8_1128
; %bb.1127:
	v_mov_b32_e32 v10, s14
	v_mov_b32_e32 v11, s15
	;; [unrolled: 1-line block ×4, first 2 shown]
	global_store_dwordx4 v[8:9], v[10:13], off offset:8
.LBB8_1128:
	s_or_b64 exec, exec, s[18:19]
	s_lshl_b64 s[14:15], s[16:17], 12
	v_mov_b32_e32 v3, s15
	v_add_co_u32_e32 v10, vcc, s14, v6
	v_addc_co_u32_e32 v11, vcc, v7, v3, vcc
	s_movk_i32 s11, 0xff1f
	v_and_or_b32 v0, v0, s11, 32
	s_mov_b32 s16, 0
	v_mov_b32_e32 v3, v2
	v_readfirstlane_b32 s14, v10
	v_readfirstlane_b32 s15, v11
	v_add_co_u32_e32 v6, vcc, v10, v42
	s_mov_b32 s17, s16
	s_mov_b32 s18, s16
	;; [unrolled: 1-line block ×3, first 2 shown]
	s_nop 0
	global_store_dwordx4 v42, v[0:3], s[14:15]
	v_addc_co_u32_e32 v7, vcc, 0, v11, vcc
	v_mov_b32_e32 v0, s16
	v_mov_b32_e32 v1, s17
	;; [unrolled: 1-line block ×4, first 2 shown]
	global_store_dwordx4 v42, v[0:3], s[14:15] offset:16
	global_store_dwordx4 v42, v[0:3], s[14:15] offset:32
	;; [unrolled: 1-line block ×3, first 2 shown]
	s_and_saveexec_b64 s[14:15], s[6:7]
	s_cbranch_execz .LBB8_1136
; %bb.1129:
	v_mov_b32_e32 v10, 0
	global_load_dwordx2 v[13:14], v10, s[50:51] offset:32 glc
	global_load_dwordx2 v[0:1], v10, s[50:51] offset:40
	v_mov_b32_e32 v11, s12
	v_mov_b32_e32 v12, s13
	s_waitcnt vmcnt(0)
	v_readfirstlane_b32 s16, v0
	v_readfirstlane_b32 s17, v1
	s_and_b64 s[16:17], s[16:17], s[12:13]
	s_mul_i32 s11, s17, 24
	s_mul_hi_u32 s17, s16, 24
	s_mul_i32 s16, s16, 24
	s_add_i32 s11, s17, s11
	v_mov_b32_e32 v0, s11
	v_add_co_u32_e32 v4, vcc, s16, v4
	v_addc_co_u32_e32 v5, vcc, v5, v0, vcc
	global_store_dwordx2 v[4:5], v[13:14], off
	s_waitcnt vmcnt(0)
	global_atomic_cmpswap_x2 v[2:3], v10, v[11:14], s[50:51] offset:32 glc
	s_waitcnt vmcnt(0)
	v_cmp_ne_u64_e32 vcc, v[2:3], v[13:14]
	s_and_saveexec_b64 s[16:17], vcc
	s_cbranch_execz .LBB8_1132
; %bb.1130:
	s_mov_b64 s[18:19], 0
.LBB8_1131:                             ; =>This Inner Loop Header: Depth=1
	s_sleep 1
	global_store_dwordx2 v[4:5], v[2:3], off
	v_mov_b32_e32 v0, s12
	v_mov_b32_e32 v1, s13
	s_waitcnt vmcnt(0)
	global_atomic_cmpswap_x2 v[0:1], v10, v[0:3], s[50:51] offset:32 glc
	s_waitcnt vmcnt(0)
	v_cmp_eq_u64_e32 vcc, v[0:1], v[2:3]
	v_mov_b32_e32 v3, v1
	s_or_b64 s[18:19], vcc, s[18:19]
	v_mov_b32_e32 v2, v0
	s_andn2_b64 exec, exec, s[18:19]
	s_cbranch_execnz .LBB8_1131
.LBB8_1132:
	s_or_b64 exec, exec, s[16:17]
	v_mov_b32_e32 v3, 0
	global_load_dwordx2 v[0:1], v3, s[50:51] offset:16
	s_mov_b64 s[16:17], exec
	v_mbcnt_lo_u32_b32 v2, s16, 0
	v_mbcnt_hi_u32_b32 v2, s17, v2
	v_cmp_eq_u32_e32 vcc, 0, v2
	s_and_saveexec_b64 s[18:19], vcc
	s_cbranch_execz .LBB8_1134
; %bb.1133:
	s_bcnt1_i32_b64 s11, s[16:17]
	v_mov_b32_e32 v2, s11
	s_waitcnt vmcnt(0)
	global_atomic_add_x2 v[0:1], v[2:3], off offset:8
.LBB8_1134:
	s_or_b64 exec, exec, s[18:19]
	s_waitcnt vmcnt(0)
	global_load_dwordx2 v[2:3], v[0:1], off offset:16
	s_waitcnt vmcnt(0)
	v_cmp_eq_u64_e32 vcc, 0, v[2:3]
	s_cbranch_vccnz .LBB8_1136
; %bb.1135:
	global_load_dword v0, v[0:1], off offset:24
	v_mov_b32_e32 v1, 0
	s_waitcnt vmcnt(0)
	global_store_dwordx2 v[2:3], v[0:1], off
	v_and_b32_e32 v0, 0xffffff, v0
	v_readfirstlane_b32 m0, v0
	s_sendmsg sendmsg(MSG_INTERRUPT)
.LBB8_1136:
	s_or_b64 exec, exec, s[14:15]
	s_branch .LBB8_1140
.LBB8_1137:                             ;   in Loop: Header=BB8_1140 Depth=1
	s_or_b64 exec, exec, s[14:15]
	v_readfirstlane_b32 s11, v0
	s_cmp_eq_u32 s11, 0
	s_cbranch_scc1 .LBB8_1139
; %bb.1138:                             ;   in Loop: Header=BB8_1140 Depth=1
	s_sleep 1
	s_cbranch_execnz .LBB8_1140
	s_branch .LBB8_1142
.LBB8_1139:
	s_branch .LBB8_1142
.LBB8_1140:                             ; =>This Inner Loop Header: Depth=1
	v_mov_b32_e32 v0, 1
	s_and_saveexec_b64 s[14:15], s[6:7]
	s_cbranch_execz .LBB8_1137
; %bb.1141:                             ;   in Loop: Header=BB8_1140 Depth=1
	global_load_dword v0, v[8:9], off offset:20 glc
	s_waitcnt vmcnt(0)
	buffer_wbinvl1_vol
	v_and_b32_e32 v0, 1, v0
	s_branch .LBB8_1137
.LBB8_1142:
	global_load_dwordx2 v[2:3], v[6:7], off
	s_and_saveexec_b64 s[14:15], s[6:7]
	s_cbranch_execz .LBB8_1145
; %bb.1143:
	v_mov_b32_e32 v8, 0
	global_load_dwordx2 v[0:1], v8, s[50:51] offset:40
	global_load_dwordx2 v[9:10], v8, s[50:51] offset:24 glc
	global_load_dwordx2 v[11:12], v8, s[50:51]
	v_mov_b32_e32 v5, s13
	s_mov_b64 s[6:7], 0
	s_waitcnt vmcnt(2)
	v_add_co_u32_e32 v6, vcc, 1, v0
	v_addc_co_u32_e32 v7, vcc, 0, v1, vcc
	v_add_co_u32_e32 v4, vcc, s12, v6
	v_addc_co_u32_e32 v5, vcc, v7, v5, vcc
	v_cmp_eq_u64_e32 vcc, 0, v[4:5]
	v_cndmask_b32_e32 v5, v5, v7, vcc
	v_cndmask_b32_e32 v4, v4, v6, vcc
	v_and_b32_e32 v1, v5, v1
	v_and_b32_e32 v0, v4, v0
	v_mul_lo_u32 v1, v1, 24
	v_mul_hi_u32 v7, v0, 24
	v_mul_lo_u32 v0, v0, 24
	s_waitcnt vmcnt(1)
	v_mov_b32_e32 v6, v9
	v_add_u32_e32 v1, v7, v1
	s_waitcnt vmcnt(0)
	v_add_co_u32_e32 v0, vcc, v11, v0
	v_addc_co_u32_e32 v1, vcc, v12, v1, vcc
	global_store_dwordx2 v[0:1], v[9:10], off
	v_mov_b32_e32 v7, v10
	s_waitcnt vmcnt(0)
	global_atomic_cmpswap_x2 v[6:7], v8, v[4:7], s[50:51] offset:24 glc
	s_waitcnt vmcnt(0)
	v_cmp_ne_u64_e32 vcc, v[6:7], v[9:10]
	s_and_b64 exec, exec, vcc
	s_cbranch_execz .LBB8_1145
.LBB8_1144:                             ; =>This Inner Loop Header: Depth=1
	s_sleep 1
	global_store_dwordx2 v[0:1], v[6:7], off
	s_waitcnt vmcnt(0)
	global_atomic_cmpswap_x2 v[9:10], v8, v[4:7], s[50:51] offset:24 glc
	s_waitcnt vmcnt(0)
	v_cmp_eq_u64_e32 vcc, v[9:10], v[6:7]
	v_mov_b32_e32 v6, v9
	s_or_b64 s[6:7], vcc, s[6:7]
	v_mov_b32_e32 v7, v10
	s_andn2_b64 exec, exec, s[6:7]
	s_cbranch_execnz .LBB8_1144
.LBB8_1145:
	s_or_b64 exec, exec, s[14:15]
.LBB8_1146:
	v_readfirstlane_b32 s6, v43
	s_waitcnt vmcnt(0)
	v_mov_b32_e32 v0, 0
	v_mov_b32_e32 v1, 0
	v_cmp_eq_u32_e64 s[6:7], s6, v43
	s_and_saveexec_b64 s[12:13], s[6:7]
	s_cbranch_execz .LBB8_1152
; %bb.1147:
	v_mov_b32_e32 v4, 0
	global_load_dwordx2 v[7:8], v4, s[50:51] offset:24 glc
	s_waitcnt vmcnt(0)
	buffer_wbinvl1_vol
	global_load_dwordx2 v[0:1], v4, s[50:51] offset:40
	global_load_dwordx2 v[5:6], v4, s[50:51]
	s_waitcnt vmcnt(1)
	v_and_b32_e32 v0, v0, v7
	v_and_b32_e32 v1, v1, v8
	v_mul_lo_u32 v1, v1, 24
	v_mul_hi_u32 v9, v0, 24
	v_mul_lo_u32 v0, v0, 24
	v_add_u32_e32 v1, v9, v1
	s_waitcnt vmcnt(0)
	v_add_co_u32_e32 v0, vcc, v5, v0
	v_addc_co_u32_e32 v1, vcc, v6, v1, vcc
	global_load_dwordx2 v[5:6], v[0:1], off glc
	s_waitcnt vmcnt(0)
	global_atomic_cmpswap_x2 v[0:1], v4, v[5:8], s[50:51] offset:24 glc
	s_waitcnt vmcnt(0)
	buffer_wbinvl1_vol
	v_cmp_ne_u64_e32 vcc, v[0:1], v[7:8]
	s_and_saveexec_b64 s[14:15], vcc
	s_cbranch_execz .LBB8_1151
; %bb.1148:
	s_mov_b64 s[16:17], 0
.LBB8_1149:                             ; =>This Inner Loop Header: Depth=1
	s_sleep 1
	global_load_dwordx2 v[5:6], v4, s[50:51] offset:40
	global_load_dwordx2 v[9:10], v4, s[50:51]
	v_mov_b32_e32 v8, v1
	v_mov_b32_e32 v7, v0
	s_waitcnt vmcnt(1)
	v_and_b32_e32 v0, v5, v7
	s_waitcnt vmcnt(0)
	v_mad_u64_u32 v[0:1], s[18:19], v0, 24, v[9:10]
	v_and_b32_e32 v5, v6, v8
	v_mad_u64_u32 v[5:6], s[18:19], v5, 24, v[1:2]
	v_mov_b32_e32 v1, v5
	global_load_dwordx2 v[5:6], v[0:1], off glc
	s_waitcnt vmcnt(0)
	global_atomic_cmpswap_x2 v[0:1], v4, v[5:8], s[50:51] offset:24 glc
	s_waitcnt vmcnt(0)
	buffer_wbinvl1_vol
	v_cmp_eq_u64_e32 vcc, v[0:1], v[7:8]
	s_or_b64 s[16:17], vcc, s[16:17]
	s_andn2_b64 exec, exec, s[16:17]
	s_cbranch_execnz .LBB8_1149
; %bb.1150:
	s_or_b64 exec, exec, s[16:17]
.LBB8_1151:
	s_or_b64 exec, exec, s[14:15]
.LBB8_1152:
	s_or_b64 exec, exec, s[12:13]
	v_mov_b32_e32 v5, 0
	global_load_dwordx2 v[10:11], v5, s[50:51] offset:40
	global_load_dwordx4 v[6:9], v5, s[50:51]
	v_readfirstlane_b32 s12, v0
	v_readfirstlane_b32 s13, v1
	s_mov_b64 s[14:15], exec
	s_waitcnt vmcnt(1)
	v_readfirstlane_b32 s16, v10
	v_readfirstlane_b32 s17, v11
	s_and_b64 s[16:17], s[12:13], s[16:17]
	s_mul_i32 s11, s17, 24
	s_mul_hi_u32 s18, s16, 24
	s_mul_i32 s19, s16, 24
	s_add_i32 s11, s18, s11
	v_mov_b32_e32 v0, s11
	s_waitcnt vmcnt(0)
	v_add_co_u32_e32 v10, vcc, s19, v6
	v_addc_co_u32_e32 v11, vcc, v7, v0, vcc
	s_and_saveexec_b64 s[18:19], s[6:7]
	s_cbranch_execz .LBB8_1154
; %bb.1153:
	v_mov_b32_e32 v12, s14
	v_mov_b32_e32 v13, s15
	;; [unrolled: 1-line block ×4, first 2 shown]
	global_store_dwordx4 v[10:11], v[12:15], off offset:8
.LBB8_1154:
	s_or_b64 exec, exec, s[18:19]
	s_lshl_b64 s[14:15], s[16:17], 12
	v_mov_b32_e32 v0, s15
	v_add_co_u32_e32 v1, vcc, s14, v8
	v_addc_co_u32_e32 v0, vcc, v9, v0, vcc
	s_movk_i32 s11, 0xff1d
	v_and_or_b32 v2, v2, s11, 34
	s_mov_b32 s16, 0
	v_mov_b32_e32 v4, 58
	v_readfirstlane_b32 s14, v1
	v_readfirstlane_b32 s15, v0
	s_mov_b32 s17, s16
	s_mov_b32 s18, s16
	;; [unrolled: 1-line block ×3, first 2 shown]
	s_nop 1
	global_store_dwordx4 v42, v[2:5], s[14:15]
	v_mov_b32_e32 v0, s16
	v_mov_b32_e32 v1, s17
	;; [unrolled: 1-line block ×4, first 2 shown]
	global_store_dwordx4 v42, v[0:3], s[14:15] offset:16
	global_store_dwordx4 v42, v[0:3], s[14:15] offset:32
	;; [unrolled: 1-line block ×3, first 2 shown]
	s_and_saveexec_b64 s[14:15], s[6:7]
	s_cbranch_execz .LBB8_1162
; %bb.1155:
	v_mov_b32_e32 v8, 0
	global_load_dwordx2 v[14:15], v8, s[50:51] offset:32 glc
	global_load_dwordx2 v[0:1], v8, s[50:51] offset:40
	v_mov_b32_e32 v12, s12
	v_mov_b32_e32 v13, s13
	s_waitcnt vmcnt(0)
	v_readfirstlane_b32 s16, v0
	v_readfirstlane_b32 s17, v1
	s_and_b64 s[16:17], s[16:17], s[12:13]
	s_mul_i32 s11, s17, 24
	s_mul_hi_u32 s17, s16, 24
	s_mul_i32 s16, s16, 24
	s_add_i32 s11, s17, s11
	v_mov_b32_e32 v0, s11
	v_add_co_u32_e32 v4, vcc, s16, v6
	v_addc_co_u32_e32 v5, vcc, v7, v0, vcc
	global_store_dwordx2 v[4:5], v[14:15], off
	s_waitcnt vmcnt(0)
	global_atomic_cmpswap_x2 v[2:3], v8, v[12:15], s[50:51] offset:32 glc
	s_waitcnt vmcnt(0)
	v_cmp_ne_u64_e32 vcc, v[2:3], v[14:15]
	s_and_saveexec_b64 s[16:17], vcc
	s_cbranch_execz .LBB8_1158
; %bb.1156:
	s_mov_b64 s[18:19], 0
.LBB8_1157:                             ; =>This Inner Loop Header: Depth=1
	s_sleep 1
	global_store_dwordx2 v[4:5], v[2:3], off
	v_mov_b32_e32 v0, s12
	v_mov_b32_e32 v1, s13
	s_waitcnt vmcnt(0)
	global_atomic_cmpswap_x2 v[0:1], v8, v[0:3], s[50:51] offset:32 glc
	s_waitcnt vmcnt(0)
	v_cmp_eq_u64_e32 vcc, v[0:1], v[2:3]
	v_mov_b32_e32 v3, v1
	s_or_b64 s[18:19], vcc, s[18:19]
	v_mov_b32_e32 v2, v0
	s_andn2_b64 exec, exec, s[18:19]
	s_cbranch_execnz .LBB8_1157
.LBB8_1158:
	s_or_b64 exec, exec, s[16:17]
	v_mov_b32_e32 v3, 0
	global_load_dwordx2 v[0:1], v3, s[50:51] offset:16
	s_mov_b64 s[16:17], exec
	v_mbcnt_lo_u32_b32 v2, s16, 0
	v_mbcnt_hi_u32_b32 v2, s17, v2
	v_cmp_eq_u32_e32 vcc, 0, v2
	s_and_saveexec_b64 s[18:19], vcc
	s_cbranch_execz .LBB8_1160
; %bb.1159:
	s_bcnt1_i32_b64 s11, s[16:17]
	v_mov_b32_e32 v2, s11
	s_waitcnt vmcnt(0)
	global_atomic_add_x2 v[0:1], v[2:3], off offset:8
.LBB8_1160:
	s_or_b64 exec, exec, s[18:19]
	s_waitcnt vmcnt(0)
	global_load_dwordx2 v[2:3], v[0:1], off offset:16
	s_waitcnt vmcnt(0)
	v_cmp_eq_u64_e32 vcc, 0, v[2:3]
	s_cbranch_vccnz .LBB8_1162
; %bb.1161:
	global_load_dword v0, v[0:1], off offset:24
	v_mov_b32_e32 v1, 0
	s_waitcnt vmcnt(0)
	global_store_dwordx2 v[2:3], v[0:1], off
	v_and_b32_e32 v0, 0xffffff, v0
	v_readfirstlane_b32 m0, v0
	s_sendmsg sendmsg(MSG_INTERRUPT)
.LBB8_1162:
	s_or_b64 exec, exec, s[14:15]
	s_branch .LBB8_1166
.LBB8_1163:                             ;   in Loop: Header=BB8_1166 Depth=1
	s_or_b64 exec, exec, s[14:15]
	v_readfirstlane_b32 s11, v0
	s_cmp_eq_u32 s11, 0
	s_cbranch_scc1 .LBB8_1165
; %bb.1164:                             ;   in Loop: Header=BB8_1166 Depth=1
	s_sleep 1
	s_cbranch_execnz .LBB8_1166
	s_branch .LBB8_1168
.LBB8_1165:
	s_branch .LBB8_1168
.LBB8_1166:                             ; =>This Inner Loop Header: Depth=1
	v_mov_b32_e32 v0, 1
	s_and_saveexec_b64 s[14:15], s[6:7]
	s_cbranch_execz .LBB8_1163
; %bb.1167:                             ;   in Loop: Header=BB8_1166 Depth=1
	global_load_dword v0, v[10:11], off offset:20 glc
	s_waitcnt vmcnt(0)
	buffer_wbinvl1_vol
	v_and_b32_e32 v0, 1, v0
	s_branch .LBB8_1163
.LBB8_1168:
	s_and_saveexec_b64 s[14:15], s[6:7]
	s_cbranch_execz .LBB8_1171
; %bb.1169:
	v_mov_b32_e32 v6, 0
	global_load_dwordx2 v[2:3], v6, s[50:51] offset:40
	global_load_dwordx2 v[7:8], v6, s[50:51] offset:24 glc
	global_load_dwordx2 v[4:5], v6, s[50:51]
	v_mov_b32_e32 v1, s13
	s_mov_b64 s[6:7], 0
	s_waitcnt vmcnt(2)
	v_add_co_u32_e32 v9, vcc, 1, v2
	v_addc_co_u32_e32 v10, vcc, 0, v3, vcc
	v_add_co_u32_e32 v0, vcc, s12, v9
	v_addc_co_u32_e32 v1, vcc, v10, v1, vcc
	v_cmp_eq_u64_e32 vcc, 0, v[0:1]
	v_cndmask_b32_e32 v1, v1, v10, vcc
	v_cndmask_b32_e32 v0, v0, v9, vcc
	v_and_b32_e32 v3, v1, v3
	v_and_b32_e32 v2, v0, v2
	v_mul_lo_u32 v3, v3, 24
	v_mul_hi_u32 v9, v2, 24
	v_mul_lo_u32 v10, v2, 24
	s_waitcnt vmcnt(1)
	v_mov_b32_e32 v2, v7
	v_add_u32_e32 v3, v9, v3
	s_waitcnt vmcnt(0)
	v_add_co_u32_e32 v4, vcc, v4, v10
	v_addc_co_u32_e32 v5, vcc, v5, v3, vcc
	global_store_dwordx2 v[4:5], v[7:8], off
	v_mov_b32_e32 v3, v8
	s_waitcnt vmcnt(0)
	global_atomic_cmpswap_x2 v[2:3], v6, v[0:3], s[50:51] offset:24 glc
	s_waitcnt vmcnt(0)
	v_cmp_ne_u64_e32 vcc, v[2:3], v[7:8]
	s_and_b64 exec, exec, vcc
	s_cbranch_execz .LBB8_1171
.LBB8_1170:                             ; =>This Inner Loop Header: Depth=1
	s_sleep 1
	global_store_dwordx2 v[4:5], v[2:3], off
	s_waitcnt vmcnt(0)
	global_atomic_cmpswap_x2 v[7:8], v6, v[0:3], s[50:51] offset:24 glc
	s_waitcnt vmcnt(0)
	v_cmp_eq_u64_e32 vcc, v[7:8], v[2:3]
	v_mov_b32_e32 v2, v7
	s_or_b64 s[6:7], vcc, s[6:7]
	v_mov_b32_e32 v3, v8
	s_andn2_b64 exec, exec, s[6:7]
	s_cbranch_execnz .LBB8_1170
.LBB8_1171:
	s_or_b64 exec, exec, s[14:15]
	v_readfirstlane_b32 s6, v43
	v_mov_b32_e32 v5, 0
	v_mov_b32_e32 v6, 0
	v_cmp_eq_u32_e64 s[6:7], s6, v43
	s_and_saveexec_b64 s[12:13], s[6:7]
	s_cbranch_execz .LBB8_1177
; %bb.1172:
	v_mov_b32_e32 v0, 0
	global_load_dwordx2 v[3:4], v0, s[50:51] offset:24 glc
	s_waitcnt vmcnt(0)
	buffer_wbinvl1_vol
	global_load_dwordx2 v[1:2], v0, s[50:51] offset:40
	global_load_dwordx2 v[5:6], v0, s[50:51]
	s_waitcnt vmcnt(1)
	v_and_b32_e32 v1, v1, v3
	v_and_b32_e32 v2, v2, v4
	v_mul_lo_u32 v2, v2, 24
	v_mul_hi_u32 v7, v1, 24
	v_mul_lo_u32 v1, v1, 24
	v_add_u32_e32 v2, v7, v2
	s_waitcnt vmcnt(0)
	v_add_co_u32_e32 v1, vcc, v5, v1
	v_addc_co_u32_e32 v2, vcc, v6, v2, vcc
	global_load_dwordx2 v[1:2], v[1:2], off glc
	s_waitcnt vmcnt(0)
	global_atomic_cmpswap_x2 v[5:6], v0, v[1:4], s[50:51] offset:24 glc
	s_waitcnt vmcnt(0)
	buffer_wbinvl1_vol
	v_cmp_ne_u64_e32 vcc, v[5:6], v[3:4]
	s_and_saveexec_b64 s[14:15], vcc
	s_cbranch_execz .LBB8_1176
; %bb.1173:
	s_mov_b64 s[16:17], 0
.LBB8_1174:                             ; =>This Inner Loop Header: Depth=1
	s_sleep 1
	global_load_dwordx2 v[1:2], v0, s[50:51] offset:40
	global_load_dwordx2 v[7:8], v0, s[50:51]
	v_mov_b32_e32 v3, v5
	v_mov_b32_e32 v4, v6
	s_waitcnt vmcnt(1)
	v_and_b32_e32 v1, v1, v3
	s_waitcnt vmcnt(0)
	v_mad_u64_u32 v[5:6], s[18:19], v1, 24, v[7:8]
	v_and_b32_e32 v2, v2, v4
	v_mov_b32_e32 v1, v6
	v_mad_u64_u32 v[1:2], s[18:19], v2, 24, v[1:2]
	v_mov_b32_e32 v6, v1
	global_load_dwordx2 v[1:2], v[5:6], off glc
	s_waitcnt vmcnt(0)
	global_atomic_cmpswap_x2 v[5:6], v0, v[1:4], s[50:51] offset:24 glc
	s_waitcnt vmcnt(0)
	buffer_wbinvl1_vol
	v_cmp_eq_u64_e32 vcc, v[5:6], v[3:4]
	s_or_b64 s[16:17], vcc, s[16:17]
	s_andn2_b64 exec, exec, s[16:17]
	s_cbranch_execnz .LBB8_1174
; %bb.1175:
	s_or_b64 exec, exec, s[16:17]
.LBB8_1176:
	s_or_b64 exec, exec, s[14:15]
.LBB8_1177:
	s_or_b64 exec, exec, s[12:13]
	v_mov_b32_e32 v4, 0
	global_load_dwordx2 v[7:8], v4, s[50:51] offset:40
	global_load_dwordx4 v[0:3], v4, s[50:51]
	v_readfirstlane_b32 s12, v5
	v_readfirstlane_b32 s13, v6
	s_mov_b64 s[14:15], exec
	s_waitcnt vmcnt(1)
	v_readfirstlane_b32 s16, v7
	v_readfirstlane_b32 s17, v8
	s_and_b64 s[16:17], s[12:13], s[16:17]
	s_mul_i32 s11, s17, 24
	s_mul_hi_u32 s18, s16, 24
	s_mul_i32 s19, s16, 24
	s_add_i32 s11, s18, s11
	v_mov_b32_e32 v5, s11
	s_waitcnt vmcnt(0)
	v_add_co_u32_e32 v7, vcc, s19, v0
	v_addc_co_u32_e32 v8, vcc, v1, v5, vcc
	s_and_saveexec_b64 s[18:19], s[6:7]
	s_cbranch_execz .LBB8_1179
; %bb.1178:
	v_mov_b32_e32 v9, s14
	v_mov_b32_e32 v10, s15
	;; [unrolled: 1-line block ×4, first 2 shown]
	global_store_dwordx4 v[7:8], v[9:12], off offset:8
.LBB8_1179:
	s_or_b64 exec, exec, s[18:19]
	s_lshl_b64 s[14:15], s[16:17], 12
	v_mov_b32_e32 v5, s15
	v_add_co_u32_e32 v2, vcc, s14, v2
	v_addc_co_u32_e32 v11, vcc, v3, v5, vcc
	s_mov_b32 s16, 0
	v_mov_b32_e32 v3, 33
	v_mov_b32_e32 v5, v4
	v_mov_b32_e32 v6, v4
	v_readfirstlane_b32 s14, v2
	v_readfirstlane_b32 s15, v11
	v_add_co_u32_e32 v9, vcc, v2, v42
	s_mov_b32 s17, s16
	s_mov_b32 s18, s16
	s_mov_b32 s19, s16
	s_nop 0
	global_store_dwordx4 v42, v[3:6], s[14:15]
	v_mov_b32_e32 v2, s16
	v_addc_co_u32_e32 v10, vcc, 0, v11, vcc
	v_mov_b32_e32 v3, s17
	v_mov_b32_e32 v4, s18
	;; [unrolled: 1-line block ×3, first 2 shown]
	global_store_dwordx4 v42, v[2:5], s[14:15] offset:16
	global_store_dwordx4 v42, v[2:5], s[14:15] offset:32
	;; [unrolled: 1-line block ×3, first 2 shown]
	s_and_saveexec_b64 s[14:15], s[6:7]
	s_cbranch_execz .LBB8_1187
; %bb.1180:
	v_mov_b32_e32 v6, 0
	global_load_dwordx2 v[13:14], v6, s[50:51] offset:32 glc
	global_load_dwordx2 v[2:3], v6, s[50:51] offset:40
	v_mov_b32_e32 v11, s12
	v_mov_b32_e32 v12, s13
	s_waitcnt vmcnt(0)
	v_readfirstlane_b32 s16, v2
	v_readfirstlane_b32 s17, v3
	s_and_b64 s[16:17], s[16:17], s[12:13]
	s_mul_i32 s11, s17, 24
	s_mul_hi_u32 s17, s16, 24
	s_mul_i32 s16, s16, 24
	s_add_i32 s11, s17, s11
	v_mov_b32_e32 v2, s11
	v_add_co_u32_e32 v4, vcc, s16, v0
	v_addc_co_u32_e32 v5, vcc, v1, v2, vcc
	global_store_dwordx2 v[4:5], v[13:14], off
	s_waitcnt vmcnt(0)
	global_atomic_cmpswap_x2 v[2:3], v6, v[11:14], s[50:51] offset:32 glc
	s_waitcnt vmcnt(0)
	v_cmp_ne_u64_e32 vcc, v[2:3], v[13:14]
	s_and_saveexec_b64 s[16:17], vcc
	s_cbranch_execz .LBB8_1183
; %bb.1181:
	s_mov_b64 s[18:19], 0
.LBB8_1182:                             ; =>This Inner Loop Header: Depth=1
	s_sleep 1
	global_store_dwordx2 v[4:5], v[2:3], off
	v_mov_b32_e32 v0, s12
	v_mov_b32_e32 v1, s13
	s_waitcnt vmcnt(0)
	global_atomic_cmpswap_x2 v[0:1], v6, v[0:3], s[50:51] offset:32 glc
	s_waitcnt vmcnt(0)
	v_cmp_eq_u64_e32 vcc, v[0:1], v[2:3]
	v_mov_b32_e32 v3, v1
	s_or_b64 s[18:19], vcc, s[18:19]
	v_mov_b32_e32 v2, v0
	s_andn2_b64 exec, exec, s[18:19]
	s_cbranch_execnz .LBB8_1182
.LBB8_1183:
	s_or_b64 exec, exec, s[16:17]
	v_mov_b32_e32 v3, 0
	global_load_dwordx2 v[0:1], v3, s[50:51] offset:16
	s_mov_b64 s[16:17], exec
	v_mbcnt_lo_u32_b32 v2, s16, 0
	v_mbcnt_hi_u32_b32 v2, s17, v2
	v_cmp_eq_u32_e32 vcc, 0, v2
	s_and_saveexec_b64 s[18:19], vcc
	s_cbranch_execz .LBB8_1185
; %bb.1184:
	s_bcnt1_i32_b64 s11, s[16:17]
	v_mov_b32_e32 v2, s11
	s_waitcnt vmcnt(0)
	global_atomic_add_x2 v[0:1], v[2:3], off offset:8
.LBB8_1185:
	s_or_b64 exec, exec, s[18:19]
	s_waitcnt vmcnt(0)
	global_load_dwordx2 v[2:3], v[0:1], off offset:16
	s_waitcnt vmcnt(0)
	v_cmp_eq_u64_e32 vcc, 0, v[2:3]
	s_cbranch_vccnz .LBB8_1187
; %bb.1186:
	global_load_dword v0, v[0:1], off offset:24
	v_mov_b32_e32 v1, 0
	s_waitcnt vmcnt(0)
	global_store_dwordx2 v[2:3], v[0:1], off
	v_and_b32_e32 v0, 0xffffff, v0
	v_readfirstlane_b32 m0, v0
	s_sendmsg sendmsg(MSG_INTERRUPT)
.LBB8_1187:
	s_or_b64 exec, exec, s[14:15]
	s_branch .LBB8_1191
.LBB8_1188:                             ;   in Loop: Header=BB8_1191 Depth=1
	s_or_b64 exec, exec, s[14:15]
	v_readfirstlane_b32 s11, v0
	s_cmp_eq_u32 s11, 0
	s_cbranch_scc1 .LBB8_1190
; %bb.1189:                             ;   in Loop: Header=BB8_1191 Depth=1
	s_sleep 1
	s_cbranch_execnz .LBB8_1191
	s_branch .LBB8_1193
.LBB8_1190:
	s_branch .LBB8_1193
.LBB8_1191:                             ; =>This Inner Loop Header: Depth=1
	v_mov_b32_e32 v0, 1
	s_and_saveexec_b64 s[14:15], s[6:7]
	s_cbranch_execz .LBB8_1188
; %bb.1192:                             ;   in Loop: Header=BB8_1191 Depth=1
	global_load_dword v0, v[7:8], off offset:20 glc
	s_waitcnt vmcnt(0)
	buffer_wbinvl1_vol
	v_and_b32_e32 v0, 1, v0
	s_branch .LBB8_1188
.LBB8_1193:
	global_load_dwordx2 v[0:1], v[9:10], off
	s_and_saveexec_b64 s[14:15], s[6:7]
	s_cbranch_execz .LBB8_1196
; %bb.1194:
	v_mov_b32_e32 v8, 0
	global_load_dwordx2 v[4:5], v8, s[50:51] offset:40
	global_load_dwordx2 v[9:10], v8, s[50:51] offset:24 glc
	global_load_dwordx2 v[6:7], v8, s[50:51]
	v_mov_b32_e32 v3, s13
	s_mov_b64 s[6:7], 0
	s_waitcnt vmcnt(2)
	v_add_co_u32_e32 v11, vcc, 1, v4
	v_addc_co_u32_e32 v12, vcc, 0, v5, vcc
	v_add_co_u32_e32 v2, vcc, s12, v11
	v_addc_co_u32_e32 v3, vcc, v12, v3, vcc
	v_cmp_eq_u64_e32 vcc, 0, v[2:3]
	v_cndmask_b32_e32 v3, v3, v12, vcc
	v_cndmask_b32_e32 v2, v2, v11, vcc
	v_and_b32_e32 v5, v3, v5
	v_and_b32_e32 v4, v2, v4
	v_mul_lo_u32 v5, v5, 24
	v_mul_hi_u32 v11, v4, 24
	v_mul_lo_u32 v12, v4, 24
	s_waitcnt vmcnt(1)
	v_mov_b32_e32 v4, v9
	v_add_u32_e32 v5, v11, v5
	s_waitcnt vmcnt(0)
	v_add_co_u32_e32 v6, vcc, v6, v12
	v_addc_co_u32_e32 v7, vcc, v7, v5, vcc
	global_store_dwordx2 v[6:7], v[9:10], off
	v_mov_b32_e32 v5, v10
	s_waitcnt vmcnt(0)
	global_atomic_cmpswap_x2 v[4:5], v8, v[2:5], s[50:51] offset:24 glc
	s_waitcnt vmcnt(0)
	v_cmp_ne_u64_e32 vcc, v[4:5], v[9:10]
	s_and_b64 exec, exec, vcc
	s_cbranch_execz .LBB8_1196
.LBB8_1195:                             ; =>This Inner Loop Header: Depth=1
	s_sleep 1
	global_store_dwordx2 v[6:7], v[4:5], off
	s_waitcnt vmcnt(0)
	global_atomic_cmpswap_x2 v[9:10], v8, v[2:5], s[50:51] offset:24 glc
	s_waitcnt vmcnt(0)
	v_cmp_eq_u64_e32 vcc, v[9:10], v[4:5]
	v_mov_b32_e32 v4, v9
	s_or_b64 s[6:7], vcc, s[6:7]
	v_mov_b32_e32 v5, v10
	s_andn2_b64 exec, exec, s[6:7]
	s_cbranch_execnz .LBB8_1195
.LBB8_1196:
	s_or_b64 exec, exec, s[14:15]
	s_and_b64 vcc, exec, s[54:55]
	s_cbranch_vccz .LBB8_1281
; %bb.1197:
	s_waitcnt vmcnt(0)
	v_and_b32_e32 v31, 2, v0
	v_mov_b32_e32 v28, 0
	v_and_b32_e32 v2, -3, v0
	v_mov_b32_e32 v3, v1
	s_mov_b64 s[14:15], 3
	v_mov_b32_e32 v6, 2
	v_mov_b32_e32 v7, 1
	s_getpc_b64 s[12:13]
	s_add_u32 s12, s12, .str.6@rel32@lo+4
	s_addc_u32 s13, s13, .str.6@rel32@hi+12
	s_branch .LBB8_1199
.LBB8_1198:                             ;   in Loop: Header=BB8_1199 Depth=1
	s_or_b64 exec, exec, s[20:21]
	s_sub_u32 s14, s14, s16
	s_subb_u32 s15, s15, s17
	s_add_u32 s12, s12, s16
	s_addc_u32 s13, s13, s17
	s_cmp_lg_u64 s[14:15], 0
	s_cbranch_scc0 .LBB8_1280
.LBB8_1199:                             ; =>This Loop Header: Depth=1
                                        ;     Child Loop BB8_1202 Depth 2
                                        ;     Child Loop BB8_1209 Depth 2
	;; [unrolled: 1-line block ×11, first 2 shown]
	v_cmp_lt_u64_e64 s[6:7], s[14:15], 56
	v_cmp_gt_u64_e64 s[18:19], s[14:15], 7
	s_and_b64 s[6:7], s[6:7], exec
	s_cselect_b32 s17, s15, 0
	s_cselect_b32 s16, s14, 56
	s_and_b64 vcc, exec, s[18:19]
	s_cbranch_vccnz .LBB8_1204
; %bb.1200:                             ;   in Loop: Header=BB8_1199 Depth=1
	v_mov_b32_e32 v10, 0
	s_cmp_eq_u64 s[14:15], 0
	v_mov_b32_e32 v11, 0
	s_mov_b64 s[6:7], 0
	s_cbranch_scc1 .LBB8_1203
; %bb.1201:                             ;   in Loop: Header=BB8_1199 Depth=1
	v_mov_b32_e32 v10, 0
	s_lshl_b64 s[18:19], s[16:17], 3
	s_mov_b64 s[20:21], 0
	v_mov_b32_e32 v11, 0
	s_mov_b64 s[22:23], s[12:13]
.LBB8_1202:                             ;   Parent Loop BB8_1199 Depth=1
                                        ; =>  This Inner Loop Header: Depth=2
	global_load_ubyte v4, v28, s[22:23]
	s_waitcnt vmcnt(0)
	v_and_b32_e32 v27, 0xffff, v4
	v_lshlrev_b64 v[4:5], s20, v[27:28]
	s_add_u32 s20, s20, 8
	s_addc_u32 s21, s21, 0
	s_add_u32 s22, s22, 1
	s_addc_u32 s23, s23, 0
	v_or_b32_e32 v10, v4, v10
	s_cmp_lg_u32 s18, s20
	v_or_b32_e32 v11, v5, v11
	s_cbranch_scc1 .LBB8_1202
.LBB8_1203:                             ;   in Loop: Header=BB8_1199 Depth=1
	s_mov_b32 s11, 0
	s_andn2_b64 vcc, exec, s[6:7]
	s_mov_b64 s[6:7], s[12:13]
	s_cbranch_vccz .LBB8_1205
	s_branch .LBB8_1206
.LBB8_1204:                             ;   in Loop: Header=BB8_1199 Depth=1
                                        ; implicit-def: $vgpr10_vgpr11
                                        ; implicit-def: $sgpr11
	s_mov_b64 s[6:7], s[12:13]
.LBB8_1205:                             ;   in Loop: Header=BB8_1199 Depth=1
	global_load_dwordx2 v[10:11], v28, s[12:13]
	s_add_i32 s11, s16, -8
	s_add_u32 s6, s12, 8
	s_addc_u32 s7, s13, 0
.LBB8_1206:                             ;   in Loop: Header=BB8_1199 Depth=1
	s_cmp_gt_u32 s11, 7
	s_cbranch_scc1 .LBB8_1210
; %bb.1207:                             ;   in Loop: Header=BB8_1199 Depth=1
	s_cmp_eq_u32 s11, 0
	s_cbranch_scc1 .LBB8_1211
; %bb.1208:                             ;   in Loop: Header=BB8_1199 Depth=1
	v_mov_b32_e32 v12, 0
	s_mov_b64 s[18:19], 0
	v_mov_b32_e32 v13, 0
	s_mov_b64 s[20:21], 0
.LBB8_1209:                             ;   Parent Loop BB8_1199 Depth=1
                                        ; =>  This Inner Loop Header: Depth=2
	s_add_u32 s22, s6, s20
	s_addc_u32 s23, s7, s21
	global_load_ubyte v4, v28, s[22:23]
	s_add_u32 s20, s20, 1
	s_addc_u32 s21, s21, 0
	s_waitcnt vmcnt(0)
	v_and_b32_e32 v27, 0xffff, v4
	v_lshlrev_b64 v[4:5], s18, v[27:28]
	s_add_u32 s18, s18, 8
	s_addc_u32 s19, s19, 0
	v_or_b32_e32 v12, v4, v12
	s_cmp_lg_u32 s11, s20
	v_or_b32_e32 v13, v5, v13
	s_cbranch_scc1 .LBB8_1209
	s_branch .LBB8_1212
.LBB8_1210:                             ;   in Loop: Header=BB8_1199 Depth=1
                                        ; implicit-def: $vgpr12_vgpr13
                                        ; implicit-def: $sgpr22
	s_branch .LBB8_1213
.LBB8_1211:                             ;   in Loop: Header=BB8_1199 Depth=1
	v_mov_b32_e32 v12, 0
	v_mov_b32_e32 v13, 0
.LBB8_1212:                             ;   in Loop: Header=BB8_1199 Depth=1
	s_mov_b32 s22, 0
	s_cbranch_execnz .LBB8_1214
.LBB8_1213:                             ;   in Loop: Header=BB8_1199 Depth=1
	global_load_dwordx2 v[12:13], v28, s[6:7]
	s_add_i32 s22, s11, -8
	s_add_u32 s6, s6, 8
	s_addc_u32 s7, s7, 0
.LBB8_1214:                             ;   in Loop: Header=BB8_1199 Depth=1
	s_cmp_gt_u32 s22, 7
	s_cbranch_scc1 .LBB8_1218
; %bb.1215:                             ;   in Loop: Header=BB8_1199 Depth=1
	s_cmp_eq_u32 s22, 0
	s_cbranch_scc1 .LBB8_1219
; %bb.1216:                             ;   in Loop: Header=BB8_1199 Depth=1
	v_mov_b32_e32 v14, 0
	s_mov_b64 s[18:19], 0
	v_mov_b32_e32 v15, 0
	s_mov_b64 s[20:21], 0
.LBB8_1217:                             ;   Parent Loop BB8_1199 Depth=1
                                        ; =>  This Inner Loop Header: Depth=2
	s_add_u32 s24, s6, s20
	s_addc_u32 s25, s7, s21
	global_load_ubyte v4, v28, s[24:25]
	s_add_u32 s20, s20, 1
	s_addc_u32 s21, s21, 0
	s_waitcnt vmcnt(0)
	v_and_b32_e32 v27, 0xffff, v4
	v_lshlrev_b64 v[4:5], s18, v[27:28]
	s_add_u32 s18, s18, 8
	s_addc_u32 s19, s19, 0
	v_or_b32_e32 v14, v4, v14
	s_cmp_lg_u32 s22, s20
	v_or_b32_e32 v15, v5, v15
	s_cbranch_scc1 .LBB8_1217
	s_branch .LBB8_1220
.LBB8_1218:                             ;   in Loop: Header=BB8_1199 Depth=1
                                        ; implicit-def: $sgpr11
	s_branch .LBB8_1221
.LBB8_1219:                             ;   in Loop: Header=BB8_1199 Depth=1
	v_mov_b32_e32 v14, 0
	v_mov_b32_e32 v15, 0
.LBB8_1220:                             ;   in Loop: Header=BB8_1199 Depth=1
	s_mov_b32 s11, 0
	s_cbranch_execnz .LBB8_1222
.LBB8_1221:                             ;   in Loop: Header=BB8_1199 Depth=1
	global_load_dwordx2 v[14:15], v28, s[6:7]
	s_add_i32 s11, s22, -8
	s_add_u32 s6, s6, 8
	s_addc_u32 s7, s7, 0
.LBB8_1222:                             ;   in Loop: Header=BB8_1199 Depth=1
	s_cmp_gt_u32 s11, 7
	s_cbranch_scc1 .LBB8_1226
; %bb.1223:                             ;   in Loop: Header=BB8_1199 Depth=1
	s_cmp_eq_u32 s11, 0
	s_cbranch_scc1 .LBB8_1227
; %bb.1224:                             ;   in Loop: Header=BB8_1199 Depth=1
	v_mov_b32_e32 v16, 0
	s_mov_b64 s[18:19], 0
	v_mov_b32_e32 v17, 0
	s_mov_b64 s[20:21], 0
.LBB8_1225:                             ;   Parent Loop BB8_1199 Depth=1
                                        ; =>  This Inner Loop Header: Depth=2
	s_add_u32 s22, s6, s20
	s_addc_u32 s23, s7, s21
	global_load_ubyte v4, v28, s[22:23]
	s_add_u32 s20, s20, 1
	s_addc_u32 s21, s21, 0
	s_waitcnt vmcnt(0)
	v_and_b32_e32 v27, 0xffff, v4
	v_lshlrev_b64 v[4:5], s18, v[27:28]
	s_add_u32 s18, s18, 8
	s_addc_u32 s19, s19, 0
	v_or_b32_e32 v16, v4, v16
	s_cmp_lg_u32 s11, s20
	v_or_b32_e32 v17, v5, v17
	s_cbranch_scc1 .LBB8_1225
	s_branch .LBB8_1228
.LBB8_1226:                             ;   in Loop: Header=BB8_1199 Depth=1
                                        ; implicit-def: $vgpr16_vgpr17
                                        ; implicit-def: $sgpr22
	s_branch .LBB8_1229
.LBB8_1227:                             ;   in Loop: Header=BB8_1199 Depth=1
	v_mov_b32_e32 v16, 0
	v_mov_b32_e32 v17, 0
.LBB8_1228:                             ;   in Loop: Header=BB8_1199 Depth=1
	s_mov_b32 s22, 0
	s_cbranch_execnz .LBB8_1230
.LBB8_1229:                             ;   in Loop: Header=BB8_1199 Depth=1
	global_load_dwordx2 v[16:17], v28, s[6:7]
	s_add_i32 s22, s11, -8
	s_add_u32 s6, s6, 8
	s_addc_u32 s7, s7, 0
.LBB8_1230:                             ;   in Loop: Header=BB8_1199 Depth=1
	s_cmp_gt_u32 s22, 7
	s_cbranch_scc1 .LBB8_1234
; %bb.1231:                             ;   in Loop: Header=BB8_1199 Depth=1
	s_cmp_eq_u32 s22, 0
	s_cbranch_scc1 .LBB8_1235
; %bb.1232:                             ;   in Loop: Header=BB8_1199 Depth=1
	v_mov_b32_e32 v18, 0
	s_mov_b64 s[18:19], 0
	v_mov_b32_e32 v19, 0
	s_mov_b64 s[20:21], 0
.LBB8_1233:                             ;   Parent Loop BB8_1199 Depth=1
                                        ; =>  This Inner Loop Header: Depth=2
	s_add_u32 s24, s6, s20
	s_addc_u32 s25, s7, s21
	global_load_ubyte v4, v28, s[24:25]
	s_add_u32 s20, s20, 1
	s_addc_u32 s21, s21, 0
	s_waitcnt vmcnt(0)
	v_and_b32_e32 v27, 0xffff, v4
	v_lshlrev_b64 v[4:5], s18, v[27:28]
	s_add_u32 s18, s18, 8
	s_addc_u32 s19, s19, 0
	v_or_b32_e32 v18, v4, v18
	s_cmp_lg_u32 s22, s20
	v_or_b32_e32 v19, v5, v19
	s_cbranch_scc1 .LBB8_1233
	s_branch .LBB8_1236
.LBB8_1234:                             ;   in Loop: Header=BB8_1199 Depth=1
                                        ; implicit-def: $sgpr11
	s_branch .LBB8_1237
.LBB8_1235:                             ;   in Loop: Header=BB8_1199 Depth=1
	v_mov_b32_e32 v18, 0
	v_mov_b32_e32 v19, 0
.LBB8_1236:                             ;   in Loop: Header=BB8_1199 Depth=1
	s_mov_b32 s11, 0
	s_cbranch_execnz .LBB8_1238
.LBB8_1237:                             ;   in Loop: Header=BB8_1199 Depth=1
	global_load_dwordx2 v[18:19], v28, s[6:7]
	s_add_i32 s11, s22, -8
	s_add_u32 s6, s6, 8
	s_addc_u32 s7, s7, 0
.LBB8_1238:                             ;   in Loop: Header=BB8_1199 Depth=1
	s_cmp_gt_u32 s11, 7
	s_cbranch_scc1 .LBB8_1242
; %bb.1239:                             ;   in Loop: Header=BB8_1199 Depth=1
	s_cmp_eq_u32 s11, 0
	s_cbranch_scc1 .LBB8_1243
; %bb.1240:                             ;   in Loop: Header=BB8_1199 Depth=1
	v_mov_b32_e32 v20, 0
	s_mov_b64 s[18:19], 0
	v_mov_b32_e32 v21, 0
	s_mov_b64 s[20:21], 0
.LBB8_1241:                             ;   Parent Loop BB8_1199 Depth=1
                                        ; =>  This Inner Loop Header: Depth=2
	s_add_u32 s22, s6, s20
	s_addc_u32 s23, s7, s21
	global_load_ubyte v4, v28, s[22:23]
	s_add_u32 s20, s20, 1
	s_addc_u32 s21, s21, 0
	s_waitcnt vmcnt(0)
	v_and_b32_e32 v27, 0xffff, v4
	v_lshlrev_b64 v[4:5], s18, v[27:28]
	s_add_u32 s18, s18, 8
	s_addc_u32 s19, s19, 0
	v_or_b32_e32 v20, v4, v20
	s_cmp_lg_u32 s11, s20
	v_or_b32_e32 v21, v5, v21
	s_cbranch_scc1 .LBB8_1241
	s_branch .LBB8_1244
.LBB8_1242:                             ;   in Loop: Header=BB8_1199 Depth=1
                                        ; implicit-def: $vgpr20_vgpr21
                                        ; implicit-def: $sgpr22
	s_branch .LBB8_1245
.LBB8_1243:                             ;   in Loop: Header=BB8_1199 Depth=1
	v_mov_b32_e32 v20, 0
	v_mov_b32_e32 v21, 0
.LBB8_1244:                             ;   in Loop: Header=BB8_1199 Depth=1
	s_mov_b32 s22, 0
	s_cbranch_execnz .LBB8_1246
.LBB8_1245:                             ;   in Loop: Header=BB8_1199 Depth=1
	global_load_dwordx2 v[20:21], v28, s[6:7]
	s_add_i32 s22, s11, -8
	s_add_u32 s6, s6, 8
	s_addc_u32 s7, s7, 0
.LBB8_1246:                             ;   in Loop: Header=BB8_1199 Depth=1
	s_cmp_gt_u32 s22, 7
	s_cbranch_scc1 .LBB8_1250
; %bb.1247:                             ;   in Loop: Header=BB8_1199 Depth=1
	s_cmp_eq_u32 s22, 0
	s_cbranch_scc1 .LBB8_1251
; %bb.1248:                             ;   in Loop: Header=BB8_1199 Depth=1
	v_mov_b32_e32 v22, 0
	s_mov_b64 s[18:19], 0
	v_mov_b32_e32 v23, 0
	s_mov_b64 s[20:21], s[6:7]
.LBB8_1249:                             ;   Parent Loop BB8_1199 Depth=1
                                        ; =>  This Inner Loop Header: Depth=2
	global_load_ubyte v4, v28, s[20:21]
	s_add_i32 s22, s22, -1
	s_waitcnt vmcnt(0)
	v_and_b32_e32 v27, 0xffff, v4
	v_lshlrev_b64 v[4:5], s18, v[27:28]
	s_add_u32 s18, s18, 8
	s_addc_u32 s19, s19, 0
	s_add_u32 s20, s20, 1
	s_addc_u32 s21, s21, 0
	v_or_b32_e32 v22, v4, v22
	s_cmp_lg_u32 s22, 0
	v_or_b32_e32 v23, v5, v23
	s_cbranch_scc1 .LBB8_1249
	s_branch .LBB8_1252
.LBB8_1250:                             ;   in Loop: Header=BB8_1199 Depth=1
	s_branch .LBB8_1253
.LBB8_1251:                             ;   in Loop: Header=BB8_1199 Depth=1
	v_mov_b32_e32 v22, 0
	v_mov_b32_e32 v23, 0
.LBB8_1252:                             ;   in Loop: Header=BB8_1199 Depth=1
	s_cbranch_execnz .LBB8_1254
.LBB8_1253:                             ;   in Loop: Header=BB8_1199 Depth=1
	global_load_dwordx2 v[22:23], v28, s[6:7]
.LBB8_1254:                             ;   in Loop: Header=BB8_1199 Depth=1
	v_readfirstlane_b32 s6, v43
	s_waitcnt vmcnt(0)
	v_mov_b32_e32 v4, 0
	v_mov_b32_e32 v5, 0
	v_cmp_eq_u32_e64 s[6:7], s6, v43
	s_and_saveexec_b64 s[18:19], s[6:7]
	s_cbranch_execz .LBB8_1260
; %bb.1255:                             ;   in Loop: Header=BB8_1199 Depth=1
	global_load_dwordx2 v[26:27], v28, s[50:51] offset:24 glc
	s_waitcnt vmcnt(0)
	buffer_wbinvl1_vol
	global_load_dwordx2 v[4:5], v28, s[50:51] offset:40
	global_load_dwordx2 v[8:9], v28, s[50:51]
	s_waitcnt vmcnt(1)
	v_and_b32_e32 v4, v4, v26
	v_and_b32_e32 v5, v5, v27
	v_mul_lo_u32 v5, v5, 24
	v_mul_hi_u32 v24, v4, 24
	v_mul_lo_u32 v4, v4, 24
	v_add_u32_e32 v5, v24, v5
	s_waitcnt vmcnt(0)
	v_add_co_u32_e32 v4, vcc, v8, v4
	v_addc_co_u32_e32 v5, vcc, v9, v5, vcc
	global_load_dwordx2 v[24:25], v[4:5], off glc
	s_waitcnt vmcnt(0)
	global_atomic_cmpswap_x2 v[4:5], v28, v[24:27], s[50:51] offset:24 glc
	s_waitcnt vmcnt(0)
	buffer_wbinvl1_vol
	v_cmp_ne_u64_e32 vcc, v[4:5], v[26:27]
	s_and_saveexec_b64 s[20:21], vcc
	s_cbranch_execz .LBB8_1259
; %bb.1256:                             ;   in Loop: Header=BB8_1199 Depth=1
	s_mov_b64 s[22:23], 0
.LBB8_1257:                             ;   Parent Loop BB8_1199 Depth=1
                                        ; =>  This Inner Loop Header: Depth=2
	s_sleep 1
	global_load_dwordx2 v[8:9], v28, s[50:51] offset:40
	global_load_dwordx2 v[24:25], v28, s[50:51]
	v_mov_b32_e32 v27, v5
	v_mov_b32_e32 v26, v4
	s_waitcnt vmcnt(1)
	v_and_b32_e32 v4, v8, v26
	s_waitcnt vmcnt(0)
	v_mad_u64_u32 v[4:5], s[24:25], v4, 24, v[24:25]
	v_and_b32_e32 v8, v9, v27
	v_mad_u64_u32 v[8:9], s[24:25], v8, 24, v[5:6]
	v_mov_b32_e32 v5, v8
	global_load_dwordx2 v[24:25], v[4:5], off glc
	s_waitcnt vmcnt(0)
	global_atomic_cmpswap_x2 v[4:5], v28, v[24:27], s[50:51] offset:24 glc
	s_waitcnt vmcnt(0)
	buffer_wbinvl1_vol
	v_cmp_eq_u64_e32 vcc, v[4:5], v[26:27]
	s_or_b64 s[22:23], vcc, s[22:23]
	s_andn2_b64 exec, exec, s[22:23]
	s_cbranch_execnz .LBB8_1257
; %bb.1258:                             ;   in Loop: Header=BB8_1199 Depth=1
	s_or_b64 exec, exec, s[22:23]
.LBB8_1259:                             ;   in Loop: Header=BB8_1199 Depth=1
	s_or_b64 exec, exec, s[20:21]
.LBB8_1260:                             ;   in Loop: Header=BB8_1199 Depth=1
	s_or_b64 exec, exec, s[18:19]
	global_load_dwordx2 v[8:9], v28, s[50:51] offset:40
	global_load_dwordx4 v[24:27], v28, s[50:51]
	v_readfirstlane_b32 s18, v4
	v_readfirstlane_b32 s19, v5
	s_mov_b64 s[22:23], exec
	s_waitcnt vmcnt(1)
	v_readfirstlane_b32 s20, v8
	v_readfirstlane_b32 s21, v9
	s_and_b64 s[20:21], s[18:19], s[20:21]
	s_mul_i32 s11, s21, 24
	s_mul_hi_u32 s24, s20, 24
	s_mul_i32 s25, s20, 24
	s_add_i32 s11, s24, s11
	v_mov_b32_e32 v4, s11
	s_waitcnt vmcnt(0)
	v_add_co_u32_e32 v29, vcc, s25, v24
	v_addc_co_u32_e32 v30, vcc, v25, v4, vcc
	s_and_saveexec_b64 s[24:25], s[6:7]
	s_cbranch_execz .LBB8_1262
; %bb.1261:                             ;   in Loop: Header=BB8_1199 Depth=1
	v_mov_b32_e32 v4, s22
	v_mov_b32_e32 v5, s23
	global_store_dwordx4 v[29:30], v[4:7], off offset:8
.LBB8_1262:                             ;   in Loop: Header=BB8_1199 Depth=1
	s_or_b64 exec, exec, s[24:25]
	v_cmp_gt_u64_e64 vcc, s[14:15], 56
	v_or_b32_e32 v4, 0, v3
	v_cndmask_b32_e32 v9, v4, v3, vcc
	v_or_b32_e32 v3, v2, v31
	s_lshl_b32 s11, s16, 2
	v_cndmask_b32_e32 v2, v3, v2, vcc
	s_add_i32 s11, s11, 28
	s_and_b32 s11, s11, 0x1e0
	v_and_b32_e32 v2, 0xffffff1f, v2
	s_lshl_b64 s[20:21], s[20:21], 12
	v_or_b32_e32 v8, s11, v2
	v_mov_b32_e32 v2, s21
	v_add_co_u32_e32 v26, vcc, s20, v26
	v_addc_co_u32_e32 v32, vcc, v27, v2, vcc
	v_readfirstlane_b32 s20, v26
	v_readfirstlane_b32 s21, v32
	s_nop 4
	global_store_dwordx4 v42, v[8:11], s[20:21]
	global_store_dwordx4 v42, v[12:15], s[20:21] offset:16
	global_store_dwordx4 v42, v[16:19], s[20:21] offset:32
	;; [unrolled: 1-line block ×3, first 2 shown]
	s_and_saveexec_b64 s[20:21], s[6:7]
	s_cbranch_execz .LBB8_1270
; %bb.1263:                             ;   in Loop: Header=BB8_1199 Depth=1
	global_load_dwordx2 v[12:13], v28, s[50:51] offset:32 glc
	global_load_dwordx2 v[2:3], v28, s[50:51] offset:40
	v_mov_b32_e32 v10, s18
	v_mov_b32_e32 v11, s19
	s_waitcnt vmcnt(0)
	v_readfirstlane_b32 s22, v2
	v_readfirstlane_b32 s23, v3
	s_and_b64 s[22:23], s[22:23], s[18:19]
	s_mul_i32 s11, s23, 24
	s_mul_hi_u32 s23, s22, 24
	s_mul_i32 s22, s22, 24
	s_add_i32 s11, s23, s11
	v_mov_b32_e32 v2, s11
	v_add_co_u32_e32 v8, vcc, s22, v24
	v_addc_co_u32_e32 v9, vcc, v25, v2, vcc
	global_store_dwordx2 v[8:9], v[12:13], off
	s_waitcnt vmcnt(0)
	global_atomic_cmpswap_x2 v[4:5], v28, v[10:13], s[50:51] offset:32 glc
	s_waitcnt vmcnt(0)
	v_cmp_ne_u64_e32 vcc, v[4:5], v[12:13]
	s_and_saveexec_b64 s[22:23], vcc
	s_cbranch_execz .LBB8_1266
; %bb.1264:                             ;   in Loop: Header=BB8_1199 Depth=1
	s_mov_b64 s[24:25], 0
.LBB8_1265:                             ;   Parent Loop BB8_1199 Depth=1
                                        ; =>  This Inner Loop Header: Depth=2
	s_sleep 1
	global_store_dwordx2 v[8:9], v[4:5], off
	v_mov_b32_e32 v2, s18
	v_mov_b32_e32 v3, s19
	s_waitcnt vmcnt(0)
	global_atomic_cmpswap_x2 v[2:3], v28, v[2:5], s[50:51] offset:32 glc
	s_waitcnt vmcnt(0)
	v_cmp_eq_u64_e32 vcc, v[2:3], v[4:5]
	v_mov_b32_e32 v5, v3
	s_or_b64 s[24:25], vcc, s[24:25]
	v_mov_b32_e32 v4, v2
	s_andn2_b64 exec, exec, s[24:25]
	s_cbranch_execnz .LBB8_1265
.LBB8_1266:                             ;   in Loop: Header=BB8_1199 Depth=1
	s_or_b64 exec, exec, s[22:23]
	global_load_dwordx2 v[2:3], v28, s[50:51] offset:16
	s_mov_b64 s[24:25], exec
	v_mbcnt_lo_u32_b32 v4, s24, 0
	v_mbcnt_hi_u32_b32 v4, s25, v4
	v_cmp_eq_u32_e32 vcc, 0, v4
	s_and_saveexec_b64 s[22:23], vcc
	s_cbranch_execz .LBB8_1268
; %bb.1267:                             ;   in Loop: Header=BB8_1199 Depth=1
	s_bcnt1_i32_b64 s11, s[24:25]
	v_mov_b32_e32 v27, s11
	s_waitcnt vmcnt(0)
	global_atomic_add_x2 v[2:3], v[27:28], off offset:8
.LBB8_1268:                             ;   in Loop: Header=BB8_1199 Depth=1
	s_or_b64 exec, exec, s[22:23]
	s_waitcnt vmcnt(0)
	global_load_dwordx2 v[4:5], v[2:3], off offset:16
	s_waitcnt vmcnt(0)
	v_cmp_eq_u64_e32 vcc, 0, v[4:5]
	s_cbranch_vccnz .LBB8_1270
; %bb.1269:                             ;   in Loop: Header=BB8_1199 Depth=1
	global_load_dword v27, v[2:3], off offset:24
	s_waitcnt vmcnt(0)
	v_and_b32_e32 v2, 0xffffff, v27
	v_readfirstlane_b32 m0, v2
	global_store_dwordx2 v[4:5], v[27:28], off
	s_sendmsg sendmsg(MSG_INTERRUPT)
.LBB8_1270:                             ;   in Loop: Header=BB8_1199 Depth=1
	s_or_b64 exec, exec, s[20:21]
	v_add_co_u32_e32 v2, vcc, v26, v42
	v_addc_co_u32_e32 v3, vcc, 0, v32, vcc
	s_branch .LBB8_1274
.LBB8_1271:                             ;   in Loop: Header=BB8_1274 Depth=2
	s_or_b64 exec, exec, s[20:21]
	v_readfirstlane_b32 s11, v4
	s_cmp_eq_u32 s11, 0
	s_cbranch_scc1 .LBB8_1273
; %bb.1272:                             ;   in Loop: Header=BB8_1274 Depth=2
	s_sleep 1
	s_cbranch_execnz .LBB8_1274
	s_branch .LBB8_1276
.LBB8_1273:                             ;   in Loop: Header=BB8_1199 Depth=1
	s_branch .LBB8_1276
.LBB8_1274:                             ;   Parent Loop BB8_1199 Depth=1
                                        ; =>  This Inner Loop Header: Depth=2
	v_mov_b32_e32 v4, 1
	s_and_saveexec_b64 s[20:21], s[6:7]
	s_cbranch_execz .LBB8_1271
; %bb.1275:                             ;   in Loop: Header=BB8_1274 Depth=2
	global_load_dword v4, v[29:30], off offset:20 glc
	s_waitcnt vmcnt(0)
	buffer_wbinvl1_vol
	v_and_b32_e32 v4, 1, v4
	s_branch .LBB8_1271
.LBB8_1276:                             ;   in Loop: Header=BB8_1199 Depth=1
	global_load_dwordx4 v[2:5], v[2:3], off
	s_and_saveexec_b64 s[20:21], s[6:7]
	s_cbranch_execz .LBB8_1198
; %bb.1277:                             ;   in Loop: Header=BB8_1199 Depth=1
	global_load_dwordx2 v[4:5], v28, s[50:51] offset:40
	global_load_dwordx2 v[12:13], v28, s[50:51] offset:24 glc
	global_load_dwordx2 v[14:15], v28, s[50:51]
	v_mov_b32_e32 v9, s19
	s_waitcnt vmcnt(2)
	v_add_co_u32_e32 v10, vcc, 1, v4
	v_addc_co_u32_e32 v11, vcc, 0, v5, vcc
	v_add_co_u32_e32 v8, vcc, s18, v10
	v_addc_co_u32_e32 v9, vcc, v11, v9, vcc
	v_cmp_eq_u64_e32 vcc, 0, v[8:9]
	v_cndmask_b32_e32 v9, v9, v11, vcc
	v_cndmask_b32_e32 v8, v8, v10, vcc
	v_and_b32_e32 v5, v9, v5
	v_and_b32_e32 v4, v8, v4
	v_mul_lo_u32 v5, v5, 24
	v_mul_hi_u32 v11, v4, 24
	v_mul_lo_u32 v4, v4, 24
	s_waitcnt vmcnt(1)
	v_mov_b32_e32 v10, v12
	v_add_u32_e32 v5, v11, v5
	s_waitcnt vmcnt(0)
	v_add_co_u32_e32 v4, vcc, v14, v4
	v_addc_co_u32_e32 v5, vcc, v15, v5, vcc
	global_store_dwordx2 v[4:5], v[12:13], off
	v_mov_b32_e32 v11, v13
	s_waitcnt vmcnt(0)
	global_atomic_cmpswap_x2 v[10:11], v28, v[8:11], s[50:51] offset:24 glc
	s_waitcnt vmcnt(0)
	v_cmp_ne_u64_e32 vcc, v[10:11], v[12:13]
	s_and_b64 exec, exec, vcc
	s_cbranch_execz .LBB8_1198
; %bb.1278:                             ;   in Loop: Header=BB8_1199 Depth=1
	s_mov_b64 s[6:7], 0
.LBB8_1279:                             ;   Parent Loop BB8_1199 Depth=1
                                        ; =>  This Inner Loop Header: Depth=2
	s_sleep 1
	global_store_dwordx2 v[4:5], v[10:11], off
	s_waitcnt vmcnt(0)
	global_atomic_cmpswap_x2 v[12:13], v28, v[8:11], s[50:51] offset:24 glc
	s_waitcnt vmcnt(0)
	v_cmp_eq_u64_e32 vcc, v[12:13], v[10:11]
	v_mov_b32_e32 v10, v12
	s_or_b64 s[6:7], vcc, s[6:7]
	v_mov_b32_e32 v11, v13
	s_andn2_b64 exec, exec, s[6:7]
	s_cbranch_execnz .LBB8_1279
	s_branch .LBB8_1198
.LBB8_1280:
	s_mov_b64 s[6:7], 0
	s_branch .LBB8_1282
.LBB8_1281:
	s_mov_b64 s[6:7], -1
                                        ; implicit-def: $vgpr2_vgpr3
.LBB8_1282:
	s_and_b64 vcc, exec, s[6:7]
	s_cbranch_vccz .LBB8_1309
; %bb.1283:
	v_readfirstlane_b32 s6, v43
	v_mov_b32_e32 v8, 0
	v_mov_b32_e32 v9, 0
	v_cmp_eq_u32_e64 s[6:7], s6, v43
	s_and_saveexec_b64 s[12:13], s[6:7]
	s_cbranch_execz .LBB8_1289
; %bb.1284:
	s_waitcnt vmcnt(0)
	v_mov_b32_e32 v2, 0
	global_load_dwordx2 v[5:6], v2, s[50:51] offset:24 glc
	s_waitcnt vmcnt(0)
	buffer_wbinvl1_vol
	global_load_dwordx2 v[3:4], v2, s[50:51] offset:40
	global_load_dwordx2 v[7:8], v2, s[50:51]
	s_waitcnt vmcnt(1)
	v_and_b32_e32 v3, v3, v5
	v_and_b32_e32 v4, v4, v6
	v_mul_lo_u32 v4, v4, 24
	v_mul_hi_u32 v9, v3, 24
	v_mul_lo_u32 v3, v3, 24
	v_add_u32_e32 v4, v9, v4
	s_waitcnt vmcnt(0)
	v_add_co_u32_e32 v3, vcc, v7, v3
	v_addc_co_u32_e32 v4, vcc, v8, v4, vcc
	global_load_dwordx2 v[3:4], v[3:4], off glc
	s_waitcnt vmcnt(0)
	global_atomic_cmpswap_x2 v[8:9], v2, v[3:6], s[50:51] offset:24 glc
	s_waitcnt vmcnt(0)
	buffer_wbinvl1_vol
	v_cmp_ne_u64_e32 vcc, v[8:9], v[5:6]
	s_and_saveexec_b64 s[14:15], vcc
	s_cbranch_execz .LBB8_1288
; %bb.1285:
	s_mov_b64 s[16:17], 0
.LBB8_1286:                             ; =>This Inner Loop Header: Depth=1
	s_sleep 1
	global_load_dwordx2 v[3:4], v2, s[50:51] offset:40
	global_load_dwordx2 v[10:11], v2, s[50:51]
	v_mov_b32_e32 v5, v8
	v_mov_b32_e32 v6, v9
	s_waitcnt vmcnt(1)
	v_and_b32_e32 v3, v3, v5
	s_waitcnt vmcnt(0)
	v_mad_u64_u32 v[7:8], s[18:19], v3, 24, v[10:11]
	v_and_b32_e32 v4, v4, v6
	v_mov_b32_e32 v3, v8
	v_mad_u64_u32 v[3:4], s[18:19], v4, 24, v[3:4]
	v_mov_b32_e32 v8, v3
	global_load_dwordx2 v[3:4], v[7:8], off glc
	s_waitcnt vmcnt(0)
	global_atomic_cmpswap_x2 v[8:9], v2, v[3:6], s[50:51] offset:24 glc
	s_waitcnt vmcnt(0)
	buffer_wbinvl1_vol
	v_cmp_eq_u64_e32 vcc, v[8:9], v[5:6]
	s_or_b64 s[16:17], vcc, s[16:17]
	s_andn2_b64 exec, exec, s[16:17]
	s_cbranch_execnz .LBB8_1286
; %bb.1287:
	s_or_b64 exec, exec, s[16:17]
.LBB8_1288:
	s_or_b64 exec, exec, s[14:15]
.LBB8_1289:
	s_or_b64 exec, exec, s[12:13]
	s_waitcnt vmcnt(0)
	v_mov_b32_e32 v2, 0
	global_load_dwordx2 v[10:11], v2, s[50:51] offset:40
	global_load_dwordx4 v[4:7], v2, s[50:51]
	v_readfirstlane_b32 s12, v8
	v_readfirstlane_b32 s13, v9
	s_mov_b64 s[14:15], exec
	s_waitcnt vmcnt(1)
	v_readfirstlane_b32 s16, v10
	v_readfirstlane_b32 s17, v11
	s_and_b64 s[16:17], s[12:13], s[16:17]
	s_mul_i32 s11, s17, 24
	s_mul_hi_u32 s18, s16, 24
	s_mul_i32 s19, s16, 24
	s_add_i32 s11, s18, s11
	v_mov_b32_e32 v3, s11
	s_waitcnt vmcnt(0)
	v_add_co_u32_e32 v8, vcc, s19, v4
	v_addc_co_u32_e32 v9, vcc, v5, v3, vcc
	s_and_saveexec_b64 s[18:19], s[6:7]
	s_cbranch_execz .LBB8_1291
; %bb.1290:
	v_mov_b32_e32 v10, s14
	v_mov_b32_e32 v11, s15
	;; [unrolled: 1-line block ×4, first 2 shown]
	global_store_dwordx4 v[8:9], v[10:13], off offset:8
.LBB8_1291:
	s_or_b64 exec, exec, s[18:19]
	s_lshl_b64 s[14:15], s[16:17], 12
	v_mov_b32_e32 v3, s15
	v_add_co_u32_e32 v10, vcc, s14, v6
	v_addc_co_u32_e32 v11, vcc, v7, v3, vcc
	s_movk_i32 s11, 0xff1f
	v_and_or_b32 v0, v0, s11, 32
	s_mov_b32 s16, 0
	v_mov_b32_e32 v3, v2
	v_readfirstlane_b32 s14, v10
	v_readfirstlane_b32 s15, v11
	v_add_co_u32_e32 v6, vcc, v10, v42
	s_mov_b32 s17, s16
	s_mov_b32 s18, s16
	;; [unrolled: 1-line block ×3, first 2 shown]
	s_nop 0
	global_store_dwordx4 v42, v[0:3], s[14:15]
	v_addc_co_u32_e32 v7, vcc, 0, v11, vcc
	v_mov_b32_e32 v0, s16
	v_mov_b32_e32 v1, s17
	;; [unrolled: 1-line block ×4, first 2 shown]
	global_store_dwordx4 v42, v[0:3], s[14:15] offset:16
	global_store_dwordx4 v42, v[0:3], s[14:15] offset:32
	;; [unrolled: 1-line block ×3, first 2 shown]
	s_and_saveexec_b64 s[14:15], s[6:7]
	s_cbranch_execz .LBB8_1299
; %bb.1292:
	v_mov_b32_e32 v10, 0
	global_load_dwordx2 v[13:14], v10, s[50:51] offset:32 glc
	global_load_dwordx2 v[0:1], v10, s[50:51] offset:40
	v_mov_b32_e32 v11, s12
	v_mov_b32_e32 v12, s13
	s_waitcnt vmcnt(0)
	v_readfirstlane_b32 s16, v0
	v_readfirstlane_b32 s17, v1
	s_and_b64 s[16:17], s[16:17], s[12:13]
	s_mul_i32 s11, s17, 24
	s_mul_hi_u32 s17, s16, 24
	s_mul_i32 s16, s16, 24
	s_add_i32 s11, s17, s11
	v_mov_b32_e32 v0, s11
	v_add_co_u32_e32 v4, vcc, s16, v4
	v_addc_co_u32_e32 v5, vcc, v5, v0, vcc
	global_store_dwordx2 v[4:5], v[13:14], off
	s_waitcnt vmcnt(0)
	global_atomic_cmpswap_x2 v[2:3], v10, v[11:14], s[50:51] offset:32 glc
	s_waitcnt vmcnt(0)
	v_cmp_ne_u64_e32 vcc, v[2:3], v[13:14]
	s_and_saveexec_b64 s[16:17], vcc
	s_cbranch_execz .LBB8_1295
; %bb.1293:
	s_mov_b64 s[18:19], 0
.LBB8_1294:                             ; =>This Inner Loop Header: Depth=1
	s_sleep 1
	global_store_dwordx2 v[4:5], v[2:3], off
	v_mov_b32_e32 v0, s12
	v_mov_b32_e32 v1, s13
	s_waitcnt vmcnt(0)
	global_atomic_cmpswap_x2 v[0:1], v10, v[0:3], s[50:51] offset:32 glc
	s_waitcnt vmcnt(0)
	v_cmp_eq_u64_e32 vcc, v[0:1], v[2:3]
	v_mov_b32_e32 v3, v1
	s_or_b64 s[18:19], vcc, s[18:19]
	v_mov_b32_e32 v2, v0
	s_andn2_b64 exec, exec, s[18:19]
	s_cbranch_execnz .LBB8_1294
.LBB8_1295:
	s_or_b64 exec, exec, s[16:17]
	v_mov_b32_e32 v3, 0
	global_load_dwordx2 v[0:1], v3, s[50:51] offset:16
	s_mov_b64 s[16:17], exec
	v_mbcnt_lo_u32_b32 v2, s16, 0
	v_mbcnt_hi_u32_b32 v2, s17, v2
	v_cmp_eq_u32_e32 vcc, 0, v2
	s_and_saveexec_b64 s[18:19], vcc
	s_cbranch_execz .LBB8_1297
; %bb.1296:
	s_bcnt1_i32_b64 s11, s[16:17]
	v_mov_b32_e32 v2, s11
	s_waitcnt vmcnt(0)
	global_atomic_add_x2 v[0:1], v[2:3], off offset:8
.LBB8_1297:
	s_or_b64 exec, exec, s[18:19]
	s_waitcnt vmcnt(0)
	global_load_dwordx2 v[2:3], v[0:1], off offset:16
	s_waitcnt vmcnt(0)
	v_cmp_eq_u64_e32 vcc, 0, v[2:3]
	s_cbranch_vccnz .LBB8_1299
; %bb.1298:
	global_load_dword v0, v[0:1], off offset:24
	v_mov_b32_e32 v1, 0
	s_waitcnt vmcnt(0)
	global_store_dwordx2 v[2:3], v[0:1], off
	v_and_b32_e32 v0, 0xffffff, v0
	v_readfirstlane_b32 m0, v0
	s_sendmsg sendmsg(MSG_INTERRUPT)
.LBB8_1299:
	s_or_b64 exec, exec, s[14:15]
	s_branch .LBB8_1303
.LBB8_1300:                             ;   in Loop: Header=BB8_1303 Depth=1
	s_or_b64 exec, exec, s[14:15]
	v_readfirstlane_b32 s11, v0
	s_cmp_eq_u32 s11, 0
	s_cbranch_scc1 .LBB8_1302
; %bb.1301:                             ;   in Loop: Header=BB8_1303 Depth=1
	s_sleep 1
	s_cbranch_execnz .LBB8_1303
	s_branch .LBB8_1305
.LBB8_1302:
	s_branch .LBB8_1305
.LBB8_1303:                             ; =>This Inner Loop Header: Depth=1
	v_mov_b32_e32 v0, 1
	s_and_saveexec_b64 s[14:15], s[6:7]
	s_cbranch_execz .LBB8_1300
; %bb.1304:                             ;   in Loop: Header=BB8_1303 Depth=1
	global_load_dword v0, v[8:9], off offset:20 glc
	s_waitcnt vmcnt(0)
	buffer_wbinvl1_vol
	v_and_b32_e32 v0, 1, v0
	s_branch .LBB8_1300
.LBB8_1305:
	global_load_dwordx2 v[2:3], v[6:7], off
	s_and_saveexec_b64 s[14:15], s[6:7]
	s_cbranch_execz .LBB8_1308
; %bb.1306:
	v_mov_b32_e32 v8, 0
	global_load_dwordx2 v[0:1], v8, s[50:51] offset:40
	global_load_dwordx2 v[9:10], v8, s[50:51] offset:24 glc
	global_load_dwordx2 v[11:12], v8, s[50:51]
	v_mov_b32_e32 v5, s13
	s_mov_b64 s[6:7], 0
	s_waitcnt vmcnt(2)
	v_add_co_u32_e32 v6, vcc, 1, v0
	v_addc_co_u32_e32 v7, vcc, 0, v1, vcc
	v_add_co_u32_e32 v4, vcc, s12, v6
	v_addc_co_u32_e32 v5, vcc, v7, v5, vcc
	v_cmp_eq_u64_e32 vcc, 0, v[4:5]
	v_cndmask_b32_e32 v5, v5, v7, vcc
	v_cndmask_b32_e32 v4, v4, v6, vcc
	v_and_b32_e32 v1, v5, v1
	v_and_b32_e32 v0, v4, v0
	v_mul_lo_u32 v1, v1, 24
	v_mul_hi_u32 v7, v0, 24
	v_mul_lo_u32 v0, v0, 24
	s_waitcnt vmcnt(1)
	v_mov_b32_e32 v6, v9
	v_add_u32_e32 v1, v7, v1
	s_waitcnt vmcnt(0)
	v_add_co_u32_e32 v0, vcc, v11, v0
	v_addc_co_u32_e32 v1, vcc, v12, v1, vcc
	global_store_dwordx2 v[0:1], v[9:10], off
	v_mov_b32_e32 v7, v10
	s_waitcnt vmcnt(0)
	global_atomic_cmpswap_x2 v[6:7], v8, v[4:7], s[50:51] offset:24 glc
	s_waitcnt vmcnt(0)
	v_cmp_ne_u64_e32 vcc, v[6:7], v[9:10]
	s_and_b64 exec, exec, vcc
	s_cbranch_execz .LBB8_1308
.LBB8_1307:                             ; =>This Inner Loop Header: Depth=1
	s_sleep 1
	global_store_dwordx2 v[0:1], v[6:7], off
	s_waitcnt vmcnt(0)
	global_atomic_cmpswap_x2 v[9:10], v8, v[4:7], s[50:51] offset:24 glc
	s_waitcnt vmcnt(0)
	v_cmp_eq_u64_e32 vcc, v[9:10], v[6:7]
	v_mov_b32_e32 v6, v9
	s_or_b64 s[6:7], vcc, s[6:7]
	v_mov_b32_e32 v7, v10
	s_andn2_b64 exec, exec, s[6:7]
	s_cbranch_execnz .LBB8_1307
.LBB8_1308:
	s_or_b64 exec, exec, s[14:15]
.LBB8_1309:
	v_readfirstlane_b32 s6, v43
	s_waitcnt vmcnt(0)
	v_mov_b32_e32 v0, 0
	v_mov_b32_e32 v1, 0
	v_cmp_eq_u32_e64 s[6:7], s6, v43
	s_and_saveexec_b64 s[12:13], s[6:7]
	s_cbranch_execz .LBB8_1315
; %bb.1310:
	v_mov_b32_e32 v4, 0
	global_load_dwordx2 v[7:8], v4, s[50:51] offset:24 glc
	s_waitcnt vmcnt(0)
	buffer_wbinvl1_vol
	global_load_dwordx2 v[0:1], v4, s[50:51] offset:40
	global_load_dwordx2 v[5:6], v4, s[50:51]
	s_waitcnt vmcnt(1)
	v_and_b32_e32 v0, v0, v7
	v_and_b32_e32 v1, v1, v8
	v_mul_lo_u32 v1, v1, 24
	v_mul_hi_u32 v9, v0, 24
	v_mul_lo_u32 v0, v0, 24
	v_add_u32_e32 v1, v9, v1
	s_waitcnt vmcnt(0)
	v_add_co_u32_e32 v0, vcc, v5, v0
	v_addc_co_u32_e32 v1, vcc, v6, v1, vcc
	global_load_dwordx2 v[5:6], v[0:1], off glc
	s_waitcnt vmcnt(0)
	global_atomic_cmpswap_x2 v[0:1], v4, v[5:8], s[50:51] offset:24 glc
	s_waitcnt vmcnt(0)
	buffer_wbinvl1_vol
	v_cmp_ne_u64_e32 vcc, v[0:1], v[7:8]
	s_and_saveexec_b64 s[14:15], vcc
	s_cbranch_execz .LBB8_1314
; %bb.1311:
	s_mov_b64 s[16:17], 0
.LBB8_1312:                             ; =>This Inner Loop Header: Depth=1
	s_sleep 1
	global_load_dwordx2 v[5:6], v4, s[50:51] offset:40
	global_load_dwordx2 v[9:10], v4, s[50:51]
	v_mov_b32_e32 v8, v1
	v_mov_b32_e32 v7, v0
	s_waitcnt vmcnt(1)
	v_and_b32_e32 v0, v5, v7
	s_waitcnt vmcnt(0)
	v_mad_u64_u32 v[0:1], s[18:19], v0, 24, v[9:10]
	v_and_b32_e32 v5, v6, v8
	v_mad_u64_u32 v[5:6], s[18:19], v5, 24, v[1:2]
	v_mov_b32_e32 v1, v5
	global_load_dwordx2 v[5:6], v[0:1], off glc
	s_waitcnt vmcnt(0)
	global_atomic_cmpswap_x2 v[0:1], v4, v[5:8], s[50:51] offset:24 glc
	s_waitcnt vmcnt(0)
	buffer_wbinvl1_vol
	v_cmp_eq_u64_e32 vcc, v[0:1], v[7:8]
	s_or_b64 s[16:17], vcc, s[16:17]
	s_andn2_b64 exec, exec, s[16:17]
	s_cbranch_execnz .LBB8_1312
; %bb.1313:
	s_or_b64 exec, exec, s[16:17]
.LBB8_1314:
	s_or_b64 exec, exec, s[14:15]
.LBB8_1315:
	s_or_b64 exec, exec, s[12:13]
	v_mov_b32_e32 v5, 0
	global_load_dwordx2 v[10:11], v5, s[50:51] offset:40
	global_load_dwordx4 v[6:9], v5, s[50:51]
	v_readfirstlane_b32 s12, v0
	v_readfirstlane_b32 s13, v1
	s_mov_b64 s[14:15], exec
	s_waitcnt vmcnt(1)
	v_readfirstlane_b32 s16, v10
	v_readfirstlane_b32 s17, v11
	s_and_b64 s[16:17], s[12:13], s[16:17]
	s_mul_i32 s11, s17, 24
	s_mul_hi_u32 s18, s16, 24
	s_mul_i32 s19, s16, 24
	s_add_i32 s11, s18, s11
	v_mov_b32_e32 v0, s11
	s_waitcnt vmcnt(0)
	v_add_co_u32_e32 v10, vcc, s19, v6
	v_addc_co_u32_e32 v11, vcc, v7, v0, vcc
	s_and_saveexec_b64 s[18:19], s[6:7]
	s_cbranch_execz .LBB8_1317
; %bb.1316:
	v_mov_b32_e32 v12, s14
	v_mov_b32_e32 v13, s15
	;; [unrolled: 1-line block ×4, first 2 shown]
	global_store_dwordx4 v[10:11], v[12:15], off offset:8
.LBB8_1317:
	s_or_b64 exec, exec, s[18:19]
	s_lshl_b64 s[14:15], s[16:17], 12
	v_mov_b32_e32 v0, s15
	v_add_co_u32_e32 v1, vcc, s14, v8
	v_addc_co_u32_e32 v0, vcc, v9, v0, vcc
	s_movk_i32 s11, 0xff1d
	v_and_or_b32 v2, v2, s11, 34
	s_mov_b32 s16, 0
	v_mov_b32_e32 v4, 10
	v_readfirstlane_b32 s14, v1
	v_readfirstlane_b32 s15, v0
	s_mov_b32 s17, s16
	s_mov_b32 s18, s16
	;; [unrolled: 1-line block ×3, first 2 shown]
	s_nop 1
	global_store_dwordx4 v42, v[2:5], s[14:15]
	v_mov_b32_e32 v0, s16
	v_mov_b32_e32 v1, s17
	;; [unrolled: 1-line block ×4, first 2 shown]
	global_store_dwordx4 v42, v[0:3], s[14:15] offset:16
	global_store_dwordx4 v42, v[0:3], s[14:15] offset:32
	;; [unrolled: 1-line block ×3, first 2 shown]
	s_and_saveexec_b64 s[14:15], s[6:7]
	s_cbranch_execz .LBB8_1325
; %bb.1318:
	v_mov_b32_e32 v8, 0
	global_load_dwordx2 v[14:15], v8, s[50:51] offset:32 glc
	global_load_dwordx2 v[0:1], v8, s[50:51] offset:40
	v_mov_b32_e32 v12, s12
	v_mov_b32_e32 v13, s13
	s_waitcnt vmcnt(0)
	v_readfirstlane_b32 s16, v0
	v_readfirstlane_b32 s17, v1
	s_and_b64 s[16:17], s[16:17], s[12:13]
	s_mul_i32 s11, s17, 24
	s_mul_hi_u32 s17, s16, 24
	s_mul_i32 s16, s16, 24
	s_add_i32 s11, s17, s11
	v_mov_b32_e32 v0, s11
	v_add_co_u32_e32 v4, vcc, s16, v6
	v_addc_co_u32_e32 v5, vcc, v7, v0, vcc
	global_store_dwordx2 v[4:5], v[14:15], off
	s_waitcnt vmcnt(0)
	global_atomic_cmpswap_x2 v[2:3], v8, v[12:15], s[50:51] offset:32 glc
	s_waitcnt vmcnt(0)
	v_cmp_ne_u64_e32 vcc, v[2:3], v[14:15]
	s_and_saveexec_b64 s[16:17], vcc
	s_cbranch_execz .LBB8_1321
; %bb.1319:
	s_mov_b64 s[18:19], 0
.LBB8_1320:                             ; =>This Inner Loop Header: Depth=1
	s_sleep 1
	global_store_dwordx2 v[4:5], v[2:3], off
	v_mov_b32_e32 v0, s12
	v_mov_b32_e32 v1, s13
	s_waitcnt vmcnt(0)
	global_atomic_cmpswap_x2 v[0:1], v8, v[0:3], s[50:51] offset:32 glc
	s_waitcnt vmcnt(0)
	v_cmp_eq_u64_e32 vcc, v[0:1], v[2:3]
	v_mov_b32_e32 v3, v1
	s_or_b64 s[18:19], vcc, s[18:19]
	v_mov_b32_e32 v2, v0
	s_andn2_b64 exec, exec, s[18:19]
	s_cbranch_execnz .LBB8_1320
.LBB8_1321:
	s_or_b64 exec, exec, s[16:17]
	v_mov_b32_e32 v3, 0
	global_load_dwordx2 v[0:1], v3, s[50:51] offset:16
	s_mov_b64 s[16:17], exec
	v_mbcnt_lo_u32_b32 v2, s16, 0
	v_mbcnt_hi_u32_b32 v2, s17, v2
	v_cmp_eq_u32_e32 vcc, 0, v2
	s_and_saveexec_b64 s[18:19], vcc
	s_cbranch_execz .LBB8_1323
; %bb.1322:
	s_bcnt1_i32_b64 s11, s[16:17]
	v_mov_b32_e32 v2, s11
	s_waitcnt vmcnt(0)
	global_atomic_add_x2 v[0:1], v[2:3], off offset:8
.LBB8_1323:
	s_or_b64 exec, exec, s[18:19]
	s_waitcnt vmcnt(0)
	global_load_dwordx2 v[2:3], v[0:1], off offset:16
	s_waitcnt vmcnt(0)
	v_cmp_eq_u64_e32 vcc, 0, v[2:3]
	s_cbranch_vccnz .LBB8_1325
; %bb.1324:
	global_load_dword v0, v[0:1], off offset:24
	v_mov_b32_e32 v1, 0
	s_waitcnt vmcnt(0)
	global_store_dwordx2 v[2:3], v[0:1], off
	v_and_b32_e32 v0, 0xffffff, v0
	v_readfirstlane_b32 m0, v0
	s_sendmsg sendmsg(MSG_INTERRUPT)
.LBB8_1325:
	s_or_b64 exec, exec, s[14:15]
	s_branch .LBB8_1329
.LBB8_1326:                             ;   in Loop: Header=BB8_1329 Depth=1
	s_or_b64 exec, exec, s[14:15]
	v_readfirstlane_b32 s11, v0
	s_cmp_eq_u32 s11, 0
	s_cbranch_scc1 .LBB8_1328
; %bb.1327:                             ;   in Loop: Header=BB8_1329 Depth=1
	s_sleep 1
	s_cbranch_execnz .LBB8_1329
	s_branch .LBB8_1331
.LBB8_1328:
	s_branch .LBB8_1331
.LBB8_1329:                             ; =>This Inner Loop Header: Depth=1
	v_mov_b32_e32 v0, 1
	s_and_saveexec_b64 s[14:15], s[6:7]
	s_cbranch_execz .LBB8_1326
; %bb.1330:                             ;   in Loop: Header=BB8_1329 Depth=1
	global_load_dword v0, v[10:11], off offset:20 glc
	s_waitcnt vmcnt(0)
	buffer_wbinvl1_vol
	v_and_b32_e32 v0, 1, v0
	s_branch .LBB8_1326
.LBB8_1331:
	s_and_saveexec_b64 s[14:15], s[6:7]
	s_cbranch_execz .LBB8_1334
; %bb.1332:
	v_mov_b32_e32 v6, 0
	global_load_dwordx2 v[2:3], v6, s[50:51] offset:40
	global_load_dwordx2 v[7:8], v6, s[50:51] offset:24 glc
	global_load_dwordx2 v[4:5], v6, s[50:51]
	v_mov_b32_e32 v1, s13
	s_mov_b64 s[6:7], 0
	s_waitcnt vmcnt(2)
	v_add_co_u32_e32 v9, vcc, 1, v2
	v_addc_co_u32_e32 v10, vcc, 0, v3, vcc
	v_add_co_u32_e32 v0, vcc, s12, v9
	v_addc_co_u32_e32 v1, vcc, v10, v1, vcc
	v_cmp_eq_u64_e32 vcc, 0, v[0:1]
	v_cndmask_b32_e32 v1, v1, v10, vcc
	v_cndmask_b32_e32 v0, v0, v9, vcc
	v_and_b32_e32 v3, v1, v3
	v_and_b32_e32 v2, v0, v2
	v_mul_lo_u32 v3, v3, 24
	v_mul_hi_u32 v9, v2, 24
	v_mul_lo_u32 v10, v2, 24
	s_waitcnt vmcnt(1)
	v_mov_b32_e32 v2, v7
	v_add_u32_e32 v3, v9, v3
	s_waitcnt vmcnt(0)
	v_add_co_u32_e32 v4, vcc, v4, v10
	v_addc_co_u32_e32 v5, vcc, v5, v3, vcc
	global_store_dwordx2 v[4:5], v[7:8], off
	v_mov_b32_e32 v3, v8
	s_waitcnt vmcnt(0)
	global_atomic_cmpswap_x2 v[2:3], v6, v[0:3], s[50:51] offset:24 glc
	s_waitcnt vmcnt(0)
	v_cmp_ne_u64_e32 vcc, v[2:3], v[7:8]
	s_and_b64 exec, exec, vcc
	s_cbranch_execz .LBB8_1334
.LBB8_1333:                             ; =>This Inner Loop Header: Depth=1
	s_sleep 1
	global_store_dwordx2 v[4:5], v[2:3], off
	s_waitcnt vmcnt(0)
	global_atomic_cmpswap_x2 v[7:8], v6, v[0:3], s[50:51] offset:24 glc
	s_waitcnt vmcnt(0)
	v_cmp_eq_u64_e32 vcc, v[7:8], v[2:3]
	v_mov_b32_e32 v2, v7
	s_or_b64 s[6:7], vcc, s[6:7]
	v_mov_b32_e32 v3, v8
	s_andn2_b64 exec, exec, s[6:7]
	s_cbranch_execnz .LBB8_1333
.LBB8_1334:
	s_or_b64 exec, exec, s[14:15]
	v_readfirstlane_b32 s6, v43
	v_mov_b32_e32 v5, 0
	v_mov_b32_e32 v6, 0
	v_cmp_eq_u32_e64 s[6:7], s6, v43
	s_and_saveexec_b64 s[12:13], s[6:7]
	s_cbranch_execz .LBB8_1340
; %bb.1335:
	v_mov_b32_e32 v0, 0
	global_load_dwordx2 v[3:4], v0, s[50:51] offset:24 glc
	s_waitcnt vmcnt(0)
	buffer_wbinvl1_vol
	global_load_dwordx2 v[1:2], v0, s[50:51] offset:40
	global_load_dwordx2 v[5:6], v0, s[50:51]
	s_waitcnt vmcnt(1)
	v_and_b32_e32 v1, v1, v3
	v_and_b32_e32 v2, v2, v4
	v_mul_lo_u32 v2, v2, 24
	v_mul_hi_u32 v7, v1, 24
	v_mul_lo_u32 v1, v1, 24
	v_add_u32_e32 v2, v7, v2
	s_waitcnt vmcnt(0)
	v_add_co_u32_e32 v1, vcc, v5, v1
	v_addc_co_u32_e32 v2, vcc, v6, v2, vcc
	global_load_dwordx2 v[1:2], v[1:2], off glc
	s_waitcnt vmcnt(0)
	global_atomic_cmpswap_x2 v[5:6], v0, v[1:4], s[50:51] offset:24 glc
	s_waitcnt vmcnt(0)
	buffer_wbinvl1_vol
	v_cmp_ne_u64_e32 vcc, v[5:6], v[3:4]
	s_and_saveexec_b64 s[14:15], vcc
	s_cbranch_execz .LBB8_1339
; %bb.1336:
	s_mov_b64 s[16:17], 0
.LBB8_1337:                             ; =>This Inner Loop Header: Depth=1
	s_sleep 1
	global_load_dwordx2 v[1:2], v0, s[50:51] offset:40
	global_load_dwordx2 v[7:8], v0, s[50:51]
	v_mov_b32_e32 v3, v5
	v_mov_b32_e32 v4, v6
	s_waitcnt vmcnt(1)
	v_and_b32_e32 v1, v1, v3
	s_waitcnt vmcnt(0)
	v_mad_u64_u32 v[5:6], s[18:19], v1, 24, v[7:8]
	v_and_b32_e32 v2, v2, v4
	v_mov_b32_e32 v1, v6
	v_mad_u64_u32 v[1:2], s[18:19], v2, 24, v[1:2]
	v_mov_b32_e32 v6, v1
	global_load_dwordx2 v[1:2], v[5:6], off glc
	s_waitcnt vmcnt(0)
	global_atomic_cmpswap_x2 v[5:6], v0, v[1:4], s[50:51] offset:24 glc
	s_waitcnt vmcnt(0)
	buffer_wbinvl1_vol
	v_cmp_eq_u64_e32 vcc, v[5:6], v[3:4]
	s_or_b64 s[16:17], vcc, s[16:17]
	s_andn2_b64 exec, exec, s[16:17]
	s_cbranch_execnz .LBB8_1337
; %bb.1338:
	s_or_b64 exec, exec, s[16:17]
.LBB8_1339:
	s_or_b64 exec, exec, s[14:15]
.LBB8_1340:
	s_or_b64 exec, exec, s[12:13]
	v_mov_b32_e32 v4, 0
	global_load_dwordx2 v[7:8], v4, s[50:51] offset:40
	global_load_dwordx4 v[0:3], v4, s[50:51]
	v_readfirstlane_b32 s12, v5
	v_readfirstlane_b32 s13, v6
	s_mov_b64 s[14:15], exec
	s_waitcnt vmcnt(1)
	v_readfirstlane_b32 s16, v7
	v_readfirstlane_b32 s17, v8
	s_and_b64 s[16:17], s[12:13], s[16:17]
	s_mul_i32 s11, s17, 24
	s_mul_hi_u32 s18, s16, 24
	s_mul_i32 s19, s16, 24
	s_add_i32 s11, s18, s11
	v_mov_b32_e32 v5, s11
	s_waitcnt vmcnt(0)
	v_add_co_u32_e32 v7, vcc, s19, v0
	v_addc_co_u32_e32 v8, vcc, v1, v5, vcc
	s_and_saveexec_b64 s[18:19], s[6:7]
	s_cbranch_execz .LBB8_1342
; %bb.1341:
	v_mov_b32_e32 v9, s14
	v_mov_b32_e32 v10, s15
	;; [unrolled: 1-line block ×4, first 2 shown]
	global_store_dwordx4 v[7:8], v[9:12], off offset:8
.LBB8_1342:
	s_or_b64 exec, exec, s[18:19]
	s_lshl_b64 s[14:15], s[16:17], 12
	v_mov_b32_e32 v5, s15
	v_add_co_u32_e32 v2, vcc, s14, v2
	v_addc_co_u32_e32 v11, vcc, v3, v5, vcc
	s_mov_b32 s16, 0
	v_mov_b32_e32 v3, 33
	v_mov_b32_e32 v5, v4
	;; [unrolled: 1-line block ×3, first 2 shown]
	v_readfirstlane_b32 s14, v2
	v_readfirstlane_b32 s15, v11
	v_add_co_u32_e32 v9, vcc, v2, v42
	s_mov_b32 s17, s16
	s_mov_b32 s18, s16
	;; [unrolled: 1-line block ×3, first 2 shown]
	s_nop 0
	global_store_dwordx4 v42, v[3:6], s[14:15]
	v_mov_b32_e32 v2, s16
	v_addc_co_u32_e32 v10, vcc, 0, v11, vcc
	v_mov_b32_e32 v3, s17
	v_mov_b32_e32 v4, s18
	;; [unrolled: 1-line block ×3, first 2 shown]
	global_store_dwordx4 v42, v[2:5], s[14:15] offset:16
	global_store_dwordx4 v42, v[2:5], s[14:15] offset:32
	;; [unrolled: 1-line block ×3, first 2 shown]
	s_and_saveexec_b64 s[14:15], s[6:7]
	s_cbranch_execz .LBB8_1350
; %bb.1343:
	v_mov_b32_e32 v6, 0
	global_load_dwordx2 v[13:14], v6, s[50:51] offset:32 glc
	global_load_dwordx2 v[2:3], v6, s[50:51] offset:40
	v_mov_b32_e32 v11, s12
	v_mov_b32_e32 v12, s13
	s_waitcnt vmcnt(0)
	v_readfirstlane_b32 s16, v2
	v_readfirstlane_b32 s17, v3
	s_and_b64 s[16:17], s[16:17], s[12:13]
	s_mul_i32 s11, s17, 24
	s_mul_hi_u32 s17, s16, 24
	s_mul_i32 s16, s16, 24
	s_add_i32 s11, s17, s11
	v_mov_b32_e32 v2, s11
	v_add_co_u32_e32 v4, vcc, s16, v0
	v_addc_co_u32_e32 v5, vcc, v1, v2, vcc
	global_store_dwordx2 v[4:5], v[13:14], off
	s_waitcnt vmcnt(0)
	global_atomic_cmpswap_x2 v[2:3], v6, v[11:14], s[50:51] offset:32 glc
	s_waitcnt vmcnt(0)
	v_cmp_ne_u64_e32 vcc, v[2:3], v[13:14]
	s_and_saveexec_b64 s[16:17], vcc
	s_cbranch_execz .LBB8_1346
; %bb.1344:
	s_mov_b64 s[18:19], 0
.LBB8_1345:                             ; =>This Inner Loop Header: Depth=1
	s_sleep 1
	global_store_dwordx2 v[4:5], v[2:3], off
	v_mov_b32_e32 v0, s12
	v_mov_b32_e32 v1, s13
	s_waitcnt vmcnt(0)
	global_atomic_cmpswap_x2 v[0:1], v6, v[0:3], s[50:51] offset:32 glc
	s_waitcnt vmcnt(0)
	v_cmp_eq_u64_e32 vcc, v[0:1], v[2:3]
	v_mov_b32_e32 v3, v1
	s_or_b64 s[18:19], vcc, s[18:19]
	v_mov_b32_e32 v2, v0
	s_andn2_b64 exec, exec, s[18:19]
	s_cbranch_execnz .LBB8_1345
.LBB8_1346:
	s_or_b64 exec, exec, s[16:17]
	v_mov_b32_e32 v3, 0
	global_load_dwordx2 v[0:1], v3, s[50:51] offset:16
	s_mov_b64 s[16:17], exec
	v_mbcnt_lo_u32_b32 v2, s16, 0
	v_mbcnt_hi_u32_b32 v2, s17, v2
	v_cmp_eq_u32_e32 vcc, 0, v2
	s_and_saveexec_b64 s[18:19], vcc
	s_cbranch_execz .LBB8_1348
; %bb.1347:
	s_bcnt1_i32_b64 s11, s[16:17]
	v_mov_b32_e32 v2, s11
	s_waitcnt vmcnt(0)
	global_atomic_add_x2 v[0:1], v[2:3], off offset:8
.LBB8_1348:
	s_or_b64 exec, exec, s[18:19]
	s_waitcnt vmcnt(0)
	global_load_dwordx2 v[2:3], v[0:1], off offset:16
	s_waitcnt vmcnt(0)
	v_cmp_eq_u64_e32 vcc, 0, v[2:3]
	s_cbranch_vccnz .LBB8_1350
; %bb.1349:
	global_load_dword v0, v[0:1], off offset:24
	v_mov_b32_e32 v1, 0
	s_waitcnt vmcnt(0)
	global_store_dwordx2 v[2:3], v[0:1], off
	v_and_b32_e32 v0, 0xffffff, v0
	v_readfirstlane_b32 m0, v0
	s_sendmsg sendmsg(MSG_INTERRUPT)
.LBB8_1350:
	s_or_b64 exec, exec, s[14:15]
	s_branch .LBB8_1354
.LBB8_1351:                             ;   in Loop: Header=BB8_1354 Depth=1
	s_or_b64 exec, exec, s[14:15]
	v_readfirstlane_b32 s11, v0
	s_cmp_eq_u32 s11, 0
	s_cbranch_scc1 .LBB8_1353
; %bb.1352:                             ;   in Loop: Header=BB8_1354 Depth=1
	s_sleep 1
	s_cbranch_execnz .LBB8_1354
	s_branch .LBB8_1356
.LBB8_1353:
	s_branch .LBB8_1356
.LBB8_1354:                             ; =>This Inner Loop Header: Depth=1
	v_mov_b32_e32 v0, 1
	s_and_saveexec_b64 s[14:15], s[6:7]
	s_cbranch_execz .LBB8_1351
; %bb.1355:                             ;   in Loop: Header=BB8_1354 Depth=1
	global_load_dword v0, v[7:8], off offset:20 glc
	s_waitcnt vmcnt(0)
	buffer_wbinvl1_vol
	v_and_b32_e32 v0, 1, v0
	s_branch .LBB8_1351
.LBB8_1356:
	global_load_dwordx2 v[4:5], v[9:10], off
	s_and_saveexec_b64 s[14:15], s[6:7]
	s_cbranch_execz .LBB8_1359
; %bb.1357:
	v_mov_b32_e32 v8, 0
	global_load_dwordx2 v[2:3], v8, s[50:51] offset:40
	global_load_dwordx2 v[9:10], v8, s[50:51] offset:24 glc
	global_load_dwordx2 v[6:7], v8, s[50:51]
	v_mov_b32_e32 v1, s13
	s_mov_b64 s[6:7], 0
	s_waitcnt vmcnt(2)
	v_add_co_u32_e32 v11, vcc, 1, v2
	v_addc_co_u32_e32 v12, vcc, 0, v3, vcc
	v_add_co_u32_e32 v0, vcc, s12, v11
	v_addc_co_u32_e32 v1, vcc, v12, v1, vcc
	v_cmp_eq_u64_e32 vcc, 0, v[0:1]
	v_cndmask_b32_e32 v1, v1, v12, vcc
	v_cndmask_b32_e32 v0, v0, v11, vcc
	v_and_b32_e32 v3, v1, v3
	v_and_b32_e32 v2, v0, v2
	v_mul_lo_u32 v3, v3, 24
	v_mul_hi_u32 v11, v2, 24
	v_mul_lo_u32 v12, v2, 24
	s_waitcnt vmcnt(1)
	v_mov_b32_e32 v2, v9
	v_add_u32_e32 v3, v11, v3
	s_waitcnt vmcnt(0)
	v_add_co_u32_e32 v6, vcc, v6, v12
	v_addc_co_u32_e32 v7, vcc, v7, v3, vcc
	global_store_dwordx2 v[6:7], v[9:10], off
	v_mov_b32_e32 v3, v10
	s_waitcnt vmcnt(0)
	global_atomic_cmpswap_x2 v[2:3], v8, v[0:3], s[50:51] offset:24 glc
	s_waitcnt vmcnt(0)
	v_cmp_ne_u64_e32 vcc, v[2:3], v[9:10]
	s_and_b64 exec, exec, vcc
	s_cbranch_execz .LBB8_1359
.LBB8_1358:                             ; =>This Inner Loop Header: Depth=1
	s_sleep 1
	global_store_dwordx2 v[6:7], v[2:3], off
	s_waitcnt vmcnt(0)
	global_atomic_cmpswap_x2 v[9:10], v8, v[0:3], s[50:51] offset:24 glc
	s_waitcnt vmcnt(0)
	v_cmp_eq_u64_e32 vcc, v[9:10], v[2:3]
	v_mov_b32_e32 v2, v9
	s_or_b64 s[6:7], vcc, s[6:7]
	v_mov_b32_e32 v3, v10
	s_andn2_b64 exec, exec, s[6:7]
	s_cbranch_execnz .LBB8_1358
.LBB8_1359:
	s_or_b64 exec, exec, s[14:15]
	s_and_b64 vcc, exec, s[8:9]
	s_cbranch_vccz .LBB8_1444
; %bb.1360:
	s_waitcnt vmcnt(0)
	v_and_b32_e32 v29, 2, v4
	v_mov_b32_e32 v26, 0
	v_and_b32_e32 v0, -3, v4
	v_mov_b32_e32 v1, v5
	s_mov_b64 s[12:13], 3
	v_mov_b32_e32 v8, 2
	v_mov_b32_e32 v9, 1
	s_getpc_b64 s[8:9]
	s_add_u32 s8, s8, .str.5@rel32@lo+4
	s_addc_u32 s9, s9, .str.5@rel32@hi+12
	s_branch .LBB8_1362
.LBB8_1361:                             ;   in Loop: Header=BB8_1362 Depth=1
	s_or_b64 exec, exec, s[18:19]
	s_sub_u32 s12, s12, s14
	s_subb_u32 s13, s13, s15
	s_add_u32 s8, s8, s14
	s_addc_u32 s9, s9, s15
	s_cmp_lg_u64 s[12:13], 0
	s_cbranch_scc0 .LBB8_1443
.LBB8_1362:                             ; =>This Loop Header: Depth=1
                                        ;     Child Loop BB8_1365 Depth 2
                                        ;     Child Loop BB8_1372 Depth 2
	;; [unrolled: 1-line block ×11, first 2 shown]
	v_cmp_lt_u64_e64 s[6:7], s[12:13], 56
	v_cmp_gt_u64_e64 s[16:17], s[12:13], 7
	s_and_b64 s[6:7], s[6:7], exec
	s_cselect_b32 s15, s13, 0
	s_cselect_b32 s14, s12, 56
	s_and_b64 vcc, exec, s[16:17]
	s_cbranch_vccnz .LBB8_1367
; %bb.1363:                             ;   in Loop: Header=BB8_1362 Depth=1
	s_waitcnt vmcnt(0)
	v_mov_b32_e32 v2, 0
	s_cmp_eq_u64 s[12:13], 0
	v_mov_b32_e32 v3, 0
	s_mov_b64 s[6:7], 0
	s_cbranch_scc1 .LBB8_1366
; %bb.1364:                             ;   in Loop: Header=BB8_1362 Depth=1
	v_mov_b32_e32 v2, 0
	s_lshl_b64 s[16:17], s[14:15], 3
	s_mov_b64 s[18:19], 0
	v_mov_b32_e32 v3, 0
	s_mov_b64 s[20:21], s[8:9]
.LBB8_1365:                             ;   Parent Loop BB8_1362 Depth=1
                                        ; =>  This Inner Loop Header: Depth=2
	global_load_ubyte v6, v26, s[20:21]
	s_waitcnt vmcnt(0)
	v_and_b32_e32 v25, 0xffff, v6
	v_lshlrev_b64 v[6:7], s18, v[25:26]
	s_add_u32 s18, s18, 8
	s_addc_u32 s19, s19, 0
	s_add_u32 s20, s20, 1
	s_addc_u32 s21, s21, 0
	v_or_b32_e32 v2, v6, v2
	s_cmp_lg_u32 s16, s18
	v_or_b32_e32 v3, v7, v3
	s_cbranch_scc1 .LBB8_1365
.LBB8_1366:                             ;   in Loop: Header=BB8_1362 Depth=1
	s_mov_b32 s11, 0
	s_andn2_b64 vcc, exec, s[6:7]
	s_mov_b64 s[6:7], s[8:9]
	s_cbranch_vccz .LBB8_1368
	s_branch .LBB8_1369
.LBB8_1367:                             ;   in Loop: Header=BB8_1362 Depth=1
                                        ; implicit-def: $vgpr2_vgpr3
                                        ; implicit-def: $sgpr11
	s_mov_b64 s[6:7], s[8:9]
.LBB8_1368:                             ;   in Loop: Header=BB8_1362 Depth=1
	global_load_dwordx2 v[2:3], v26, s[8:9]
	s_add_i32 s11, s14, -8
	s_add_u32 s6, s8, 8
	s_addc_u32 s7, s9, 0
.LBB8_1369:                             ;   in Loop: Header=BB8_1362 Depth=1
	s_cmp_gt_u32 s11, 7
	s_cbranch_scc1 .LBB8_1373
; %bb.1370:                             ;   in Loop: Header=BB8_1362 Depth=1
	s_cmp_eq_u32 s11, 0
	s_cbranch_scc1 .LBB8_1374
; %bb.1371:                             ;   in Loop: Header=BB8_1362 Depth=1
	v_mov_b32_e32 v10, 0
	s_mov_b64 s[16:17], 0
	v_mov_b32_e32 v11, 0
	s_mov_b64 s[18:19], 0
.LBB8_1372:                             ;   Parent Loop BB8_1362 Depth=1
                                        ; =>  This Inner Loop Header: Depth=2
	s_add_u32 s20, s6, s18
	s_addc_u32 s21, s7, s19
	global_load_ubyte v6, v26, s[20:21]
	s_add_u32 s18, s18, 1
	s_addc_u32 s19, s19, 0
	s_waitcnt vmcnt(0)
	v_and_b32_e32 v25, 0xffff, v6
	v_lshlrev_b64 v[6:7], s16, v[25:26]
	s_add_u32 s16, s16, 8
	s_addc_u32 s17, s17, 0
	v_or_b32_e32 v10, v6, v10
	s_cmp_lg_u32 s11, s18
	v_or_b32_e32 v11, v7, v11
	s_cbranch_scc1 .LBB8_1372
	s_branch .LBB8_1375
.LBB8_1373:                             ;   in Loop: Header=BB8_1362 Depth=1
                                        ; implicit-def: $vgpr10_vgpr11
                                        ; implicit-def: $sgpr20
	s_branch .LBB8_1376
.LBB8_1374:                             ;   in Loop: Header=BB8_1362 Depth=1
	v_mov_b32_e32 v10, 0
	v_mov_b32_e32 v11, 0
.LBB8_1375:                             ;   in Loop: Header=BB8_1362 Depth=1
	s_mov_b32 s20, 0
	s_cbranch_execnz .LBB8_1377
.LBB8_1376:                             ;   in Loop: Header=BB8_1362 Depth=1
	global_load_dwordx2 v[10:11], v26, s[6:7]
	s_add_i32 s20, s11, -8
	s_add_u32 s6, s6, 8
	s_addc_u32 s7, s7, 0
.LBB8_1377:                             ;   in Loop: Header=BB8_1362 Depth=1
	s_cmp_gt_u32 s20, 7
	s_cbranch_scc1 .LBB8_1381
; %bb.1378:                             ;   in Loop: Header=BB8_1362 Depth=1
	s_cmp_eq_u32 s20, 0
	s_cbranch_scc1 .LBB8_1382
; %bb.1379:                             ;   in Loop: Header=BB8_1362 Depth=1
	v_mov_b32_e32 v12, 0
	s_mov_b64 s[16:17], 0
	v_mov_b32_e32 v13, 0
	s_mov_b64 s[18:19], 0
.LBB8_1380:                             ;   Parent Loop BB8_1362 Depth=1
                                        ; =>  This Inner Loop Header: Depth=2
	s_add_u32 s22, s6, s18
	s_addc_u32 s23, s7, s19
	global_load_ubyte v6, v26, s[22:23]
	s_add_u32 s18, s18, 1
	s_addc_u32 s19, s19, 0
	s_waitcnt vmcnt(0)
	v_and_b32_e32 v25, 0xffff, v6
	v_lshlrev_b64 v[6:7], s16, v[25:26]
	s_add_u32 s16, s16, 8
	s_addc_u32 s17, s17, 0
	v_or_b32_e32 v12, v6, v12
	s_cmp_lg_u32 s20, s18
	v_or_b32_e32 v13, v7, v13
	s_cbranch_scc1 .LBB8_1380
	s_branch .LBB8_1383
.LBB8_1381:                             ;   in Loop: Header=BB8_1362 Depth=1
                                        ; implicit-def: $sgpr11
	s_branch .LBB8_1384
.LBB8_1382:                             ;   in Loop: Header=BB8_1362 Depth=1
	v_mov_b32_e32 v12, 0
	v_mov_b32_e32 v13, 0
.LBB8_1383:                             ;   in Loop: Header=BB8_1362 Depth=1
	s_mov_b32 s11, 0
	s_cbranch_execnz .LBB8_1385
.LBB8_1384:                             ;   in Loop: Header=BB8_1362 Depth=1
	global_load_dwordx2 v[12:13], v26, s[6:7]
	s_add_i32 s11, s20, -8
	s_add_u32 s6, s6, 8
	s_addc_u32 s7, s7, 0
.LBB8_1385:                             ;   in Loop: Header=BB8_1362 Depth=1
	s_cmp_gt_u32 s11, 7
	s_cbranch_scc1 .LBB8_1389
; %bb.1386:                             ;   in Loop: Header=BB8_1362 Depth=1
	s_cmp_eq_u32 s11, 0
	s_cbranch_scc1 .LBB8_1390
; %bb.1387:                             ;   in Loop: Header=BB8_1362 Depth=1
	v_mov_b32_e32 v14, 0
	s_mov_b64 s[16:17], 0
	v_mov_b32_e32 v15, 0
	s_mov_b64 s[18:19], 0
.LBB8_1388:                             ;   Parent Loop BB8_1362 Depth=1
                                        ; =>  This Inner Loop Header: Depth=2
	s_add_u32 s20, s6, s18
	s_addc_u32 s21, s7, s19
	global_load_ubyte v6, v26, s[20:21]
	s_add_u32 s18, s18, 1
	s_addc_u32 s19, s19, 0
	s_waitcnt vmcnt(0)
	v_and_b32_e32 v25, 0xffff, v6
	v_lshlrev_b64 v[6:7], s16, v[25:26]
	s_add_u32 s16, s16, 8
	s_addc_u32 s17, s17, 0
	v_or_b32_e32 v14, v6, v14
	s_cmp_lg_u32 s11, s18
	v_or_b32_e32 v15, v7, v15
	s_cbranch_scc1 .LBB8_1388
	s_branch .LBB8_1391
.LBB8_1389:                             ;   in Loop: Header=BB8_1362 Depth=1
                                        ; implicit-def: $vgpr14_vgpr15
                                        ; implicit-def: $sgpr20
	s_branch .LBB8_1392
.LBB8_1390:                             ;   in Loop: Header=BB8_1362 Depth=1
	v_mov_b32_e32 v14, 0
	v_mov_b32_e32 v15, 0
.LBB8_1391:                             ;   in Loop: Header=BB8_1362 Depth=1
	s_mov_b32 s20, 0
	s_cbranch_execnz .LBB8_1393
.LBB8_1392:                             ;   in Loop: Header=BB8_1362 Depth=1
	global_load_dwordx2 v[14:15], v26, s[6:7]
	s_add_i32 s20, s11, -8
	s_add_u32 s6, s6, 8
	s_addc_u32 s7, s7, 0
.LBB8_1393:                             ;   in Loop: Header=BB8_1362 Depth=1
	s_cmp_gt_u32 s20, 7
	s_cbranch_scc1 .LBB8_1397
; %bb.1394:                             ;   in Loop: Header=BB8_1362 Depth=1
	s_cmp_eq_u32 s20, 0
	s_cbranch_scc1 .LBB8_1398
; %bb.1395:                             ;   in Loop: Header=BB8_1362 Depth=1
	v_mov_b32_e32 v16, 0
	s_mov_b64 s[16:17], 0
	v_mov_b32_e32 v17, 0
	s_mov_b64 s[18:19], 0
.LBB8_1396:                             ;   Parent Loop BB8_1362 Depth=1
                                        ; =>  This Inner Loop Header: Depth=2
	s_add_u32 s22, s6, s18
	s_addc_u32 s23, s7, s19
	global_load_ubyte v6, v26, s[22:23]
	s_add_u32 s18, s18, 1
	s_addc_u32 s19, s19, 0
	s_waitcnt vmcnt(0)
	v_and_b32_e32 v25, 0xffff, v6
	v_lshlrev_b64 v[6:7], s16, v[25:26]
	s_add_u32 s16, s16, 8
	s_addc_u32 s17, s17, 0
	v_or_b32_e32 v16, v6, v16
	s_cmp_lg_u32 s20, s18
	v_or_b32_e32 v17, v7, v17
	s_cbranch_scc1 .LBB8_1396
	s_branch .LBB8_1399
.LBB8_1397:                             ;   in Loop: Header=BB8_1362 Depth=1
                                        ; implicit-def: $sgpr11
	s_branch .LBB8_1400
.LBB8_1398:                             ;   in Loop: Header=BB8_1362 Depth=1
	v_mov_b32_e32 v16, 0
	v_mov_b32_e32 v17, 0
.LBB8_1399:                             ;   in Loop: Header=BB8_1362 Depth=1
	s_mov_b32 s11, 0
	s_cbranch_execnz .LBB8_1401
.LBB8_1400:                             ;   in Loop: Header=BB8_1362 Depth=1
	global_load_dwordx2 v[16:17], v26, s[6:7]
	s_add_i32 s11, s20, -8
	s_add_u32 s6, s6, 8
	s_addc_u32 s7, s7, 0
.LBB8_1401:                             ;   in Loop: Header=BB8_1362 Depth=1
	s_cmp_gt_u32 s11, 7
	s_cbranch_scc1 .LBB8_1405
; %bb.1402:                             ;   in Loop: Header=BB8_1362 Depth=1
	s_cmp_eq_u32 s11, 0
	s_cbranch_scc1 .LBB8_1406
; %bb.1403:                             ;   in Loop: Header=BB8_1362 Depth=1
	v_mov_b32_e32 v18, 0
	s_mov_b64 s[16:17], 0
	v_mov_b32_e32 v19, 0
	s_mov_b64 s[18:19], 0
.LBB8_1404:                             ;   Parent Loop BB8_1362 Depth=1
                                        ; =>  This Inner Loop Header: Depth=2
	s_add_u32 s20, s6, s18
	s_addc_u32 s21, s7, s19
	global_load_ubyte v6, v26, s[20:21]
	s_add_u32 s18, s18, 1
	s_addc_u32 s19, s19, 0
	s_waitcnt vmcnt(0)
	v_and_b32_e32 v25, 0xffff, v6
	v_lshlrev_b64 v[6:7], s16, v[25:26]
	s_add_u32 s16, s16, 8
	s_addc_u32 s17, s17, 0
	v_or_b32_e32 v18, v6, v18
	s_cmp_lg_u32 s11, s18
	v_or_b32_e32 v19, v7, v19
	s_cbranch_scc1 .LBB8_1404
	s_branch .LBB8_1407
.LBB8_1405:                             ;   in Loop: Header=BB8_1362 Depth=1
                                        ; implicit-def: $vgpr18_vgpr19
                                        ; implicit-def: $sgpr20
	s_branch .LBB8_1408
.LBB8_1406:                             ;   in Loop: Header=BB8_1362 Depth=1
	v_mov_b32_e32 v18, 0
	v_mov_b32_e32 v19, 0
.LBB8_1407:                             ;   in Loop: Header=BB8_1362 Depth=1
	s_mov_b32 s20, 0
	s_cbranch_execnz .LBB8_1409
.LBB8_1408:                             ;   in Loop: Header=BB8_1362 Depth=1
	global_load_dwordx2 v[18:19], v26, s[6:7]
	s_add_i32 s20, s11, -8
	s_add_u32 s6, s6, 8
	s_addc_u32 s7, s7, 0
.LBB8_1409:                             ;   in Loop: Header=BB8_1362 Depth=1
	s_cmp_gt_u32 s20, 7
	s_cbranch_scc1 .LBB8_1413
; %bb.1410:                             ;   in Loop: Header=BB8_1362 Depth=1
	s_cmp_eq_u32 s20, 0
	s_cbranch_scc1 .LBB8_1414
; %bb.1411:                             ;   in Loop: Header=BB8_1362 Depth=1
	v_mov_b32_e32 v20, 0
	s_mov_b64 s[16:17], 0
	v_mov_b32_e32 v21, 0
	s_mov_b64 s[18:19], s[6:7]
.LBB8_1412:                             ;   Parent Loop BB8_1362 Depth=1
                                        ; =>  This Inner Loop Header: Depth=2
	global_load_ubyte v6, v26, s[18:19]
	s_add_i32 s20, s20, -1
	s_waitcnt vmcnt(0)
	v_and_b32_e32 v25, 0xffff, v6
	v_lshlrev_b64 v[6:7], s16, v[25:26]
	s_add_u32 s16, s16, 8
	s_addc_u32 s17, s17, 0
	s_add_u32 s18, s18, 1
	s_addc_u32 s19, s19, 0
	v_or_b32_e32 v20, v6, v20
	s_cmp_lg_u32 s20, 0
	v_or_b32_e32 v21, v7, v21
	s_cbranch_scc1 .LBB8_1412
	s_branch .LBB8_1415
.LBB8_1413:                             ;   in Loop: Header=BB8_1362 Depth=1
	s_branch .LBB8_1416
.LBB8_1414:                             ;   in Loop: Header=BB8_1362 Depth=1
	v_mov_b32_e32 v20, 0
	v_mov_b32_e32 v21, 0
.LBB8_1415:                             ;   in Loop: Header=BB8_1362 Depth=1
	s_cbranch_execnz .LBB8_1417
.LBB8_1416:                             ;   in Loop: Header=BB8_1362 Depth=1
	global_load_dwordx2 v[20:21], v26, s[6:7]
.LBB8_1417:                             ;   in Loop: Header=BB8_1362 Depth=1
	v_readfirstlane_b32 s6, v43
	v_mov_b32_e32 v6, 0
	v_mov_b32_e32 v7, 0
	v_cmp_eq_u32_e64 s[6:7], s6, v43
	s_and_saveexec_b64 s[16:17], s[6:7]
	s_cbranch_execz .LBB8_1423
; %bb.1418:                             ;   in Loop: Header=BB8_1362 Depth=1
	global_load_dwordx2 v[24:25], v26, s[50:51] offset:24 glc
	s_waitcnt vmcnt(0)
	buffer_wbinvl1_vol
	global_load_dwordx2 v[6:7], v26, s[50:51] offset:40
	global_load_dwordx2 v[22:23], v26, s[50:51]
	s_waitcnt vmcnt(1)
	v_and_b32_e32 v6, v6, v24
	v_and_b32_e32 v7, v7, v25
	v_mul_lo_u32 v7, v7, 24
	v_mul_hi_u32 v27, v6, 24
	v_mul_lo_u32 v6, v6, 24
	v_add_u32_e32 v7, v27, v7
	s_waitcnt vmcnt(0)
	v_add_co_u32_e32 v6, vcc, v22, v6
	v_addc_co_u32_e32 v7, vcc, v23, v7, vcc
	global_load_dwordx2 v[22:23], v[6:7], off glc
	s_waitcnt vmcnt(0)
	global_atomic_cmpswap_x2 v[6:7], v26, v[22:25], s[50:51] offset:24 glc
	s_waitcnt vmcnt(0)
	buffer_wbinvl1_vol
	v_cmp_ne_u64_e32 vcc, v[6:7], v[24:25]
	s_and_saveexec_b64 s[18:19], vcc
	s_cbranch_execz .LBB8_1422
; %bb.1419:                             ;   in Loop: Header=BB8_1362 Depth=1
	s_mov_b64 s[20:21], 0
.LBB8_1420:                             ;   Parent Loop BB8_1362 Depth=1
                                        ; =>  This Inner Loop Header: Depth=2
	s_sleep 1
	global_load_dwordx2 v[22:23], v26, s[50:51] offset:40
	global_load_dwordx2 v[27:28], v26, s[50:51]
	v_mov_b32_e32 v25, v7
	v_mov_b32_e32 v24, v6
	s_waitcnt vmcnt(1)
	v_and_b32_e32 v6, v22, v24
	s_waitcnt vmcnt(0)
	v_mad_u64_u32 v[6:7], s[22:23], v6, 24, v[27:28]
	v_and_b32_e32 v22, v23, v25
	v_mad_u64_u32 v[22:23], s[22:23], v22, 24, v[7:8]
	v_mov_b32_e32 v7, v22
	global_load_dwordx2 v[22:23], v[6:7], off glc
	s_waitcnt vmcnt(0)
	global_atomic_cmpswap_x2 v[6:7], v26, v[22:25], s[50:51] offset:24 glc
	s_waitcnt vmcnt(0)
	buffer_wbinvl1_vol
	v_cmp_eq_u64_e32 vcc, v[6:7], v[24:25]
	s_or_b64 s[20:21], vcc, s[20:21]
	s_andn2_b64 exec, exec, s[20:21]
	s_cbranch_execnz .LBB8_1420
; %bb.1421:                             ;   in Loop: Header=BB8_1362 Depth=1
	s_or_b64 exec, exec, s[20:21]
.LBB8_1422:                             ;   in Loop: Header=BB8_1362 Depth=1
	s_or_b64 exec, exec, s[18:19]
.LBB8_1423:                             ;   in Loop: Header=BB8_1362 Depth=1
	s_or_b64 exec, exec, s[16:17]
	global_load_dwordx2 v[27:28], v26, s[50:51] offset:40
	global_load_dwordx4 v[22:25], v26, s[50:51]
	v_readfirstlane_b32 s16, v6
	v_readfirstlane_b32 s17, v7
	s_mov_b64 s[20:21], exec
	s_waitcnt vmcnt(1)
	v_readfirstlane_b32 s18, v27
	v_readfirstlane_b32 s19, v28
	s_and_b64 s[18:19], s[16:17], s[18:19]
	s_mul_i32 s11, s19, 24
	s_mul_hi_u32 s22, s18, 24
	s_mul_i32 s23, s18, 24
	s_add_i32 s11, s22, s11
	v_mov_b32_e32 v6, s11
	s_waitcnt vmcnt(0)
	v_add_co_u32_e32 v27, vcc, s23, v22
	v_addc_co_u32_e32 v28, vcc, v23, v6, vcc
	s_and_saveexec_b64 s[22:23], s[6:7]
	s_cbranch_execz .LBB8_1425
; %bb.1424:                             ;   in Loop: Header=BB8_1362 Depth=1
	v_mov_b32_e32 v6, s20
	v_mov_b32_e32 v7, s21
	global_store_dwordx4 v[27:28], v[6:9], off offset:8
.LBB8_1425:                             ;   in Loop: Header=BB8_1362 Depth=1
	s_or_b64 exec, exec, s[22:23]
	v_cmp_gt_u64_e64 vcc, s[12:13], 56
	v_or_b32_e32 v6, 0, v1
	v_cndmask_b32_e32 v1, v6, v1, vcc
	v_or_b32_e32 v6, v0, v29
	s_lshl_b32 s11, s14, 2
	s_lshl_b64 s[18:19], s[18:19], 12
	v_cndmask_b32_e32 v0, v6, v0, vcc
	s_add_i32 s11, s11, 28
	v_mov_b32_e32 v6, s19
	v_add_co_u32_e32 v24, vcc, s18, v24
	s_and_b32 s11, s11, 0x1e0
	v_and_b32_e32 v0, 0xffffff1f, v0
	v_addc_co_u32_e32 v30, vcc, v25, v6, vcc
	v_or_b32_e32 v0, s11, v0
	v_readfirstlane_b32 s18, v24
	v_readfirstlane_b32 s19, v30
	s_nop 4
	global_store_dwordx4 v42, v[0:3], s[18:19]
	global_store_dwordx4 v42, v[10:13], s[18:19] offset:16
	global_store_dwordx4 v42, v[14:17], s[18:19] offset:32
	;; [unrolled: 1-line block ×3, first 2 shown]
	s_and_saveexec_b64 s[18:19], s[6:7]
	s_cbranch_execz .LBB8_1433
; %bb.1426:                             ;   in Loop: Header=BB8_1362 Depth=1
	global_load_dwordx2 v[12:13], v26, s[50:51] offset:32 glc
	global_load_dwordx2 v[0:1], v26, s[50:51] offset:40
	v_mov_b32_e32 v10, s16
	v_mov_b32_e32 v11, s17
	s_waitcnt vmcnt(0)
	v_readfirstlane_b32 s20, v0
	v_readfirstlane_b32 s21, v1
	s_and_b64 s[20:21], s[20:21], s[16:17]
	s_mul_i32 s11, s21, 24
	s_mul_hi_u32 s21, s20, 24
	s_mul_i32 s20, s20, 24
	s_add_i32 s11, s21, s11
	v_mov_b32_e32 v0, s11
	v_add_co_u32_e32 v6, vcc, s20, v22
	v_addc_co_u32_e32 v7, vcc, v23, v0, vcc
	global_store_dwordx2 v[6:7], v[12:13], off
	s_waitcnt vmcnt(0)
	global_atomic_cmpswap_x2 v[2:3], v26, v[10:13], s[50:51] offset:32 glc
	s_waitcnt vmcnt(0)
	v_cmp_ne_u64_e32 vcc, v[2:3], v[12:13]
	s_and_saveexec_b64 s[20:21], vcc
	s_cbranch_execz .LBB8_1429
; %bb.1427:                             ;   in Loop: Header=BB8_1362 Depth=1
	s_mov_b64 s[22:23], 0
.LBB8_1428:                             ;   Parent Loop BB8_1362 Depth=1
                                        ; =>  This Inner Loop Header: Depth=2
	s_sleep 1
	global_store_dwordx2 v[6:7], v[2:3], off
	v_mov_b32_e32 v0, s16
	v_mov_b32_e32 v1, s17
	s_waitcnt vmcnt(0)
	global_atomic_cmpswap_x2 v[0:1], v26, v[0:3], s[50:51] offset:32 glc
	s_waitcnt vmcnt(0)
	v_cmp_eq_u64_e32 vcc, v[0:1], v[2:3]
	v_mov_b32_e32 v3, v1
	s_or_b64 s[22:23], vcc, s[22:23]
	v_mov_b32_e32 v2, v0
	s_andn2_b64 exec, exec, s[22:23]
	s_cbranch_execnz .LBB8_1428
.LBB8_1429:                             ;   in Loop: Header=BB8_1362 Depth=1
	s_or_b64 exec, exec, s[20:21]
	global_load_dwordx2 v[0:1], v26, s[50:51] offset:16
	s_mov_b64 s[22:23], exec
	v_mbcnt_lo_u32_b32 v2, s22, 0
	v_mbcnt_hi_u32_b32 v2, s23, v2
	v_cmp_eq_u32_e32 vcc, 0, v2
	s_and_saveexec_b64 s[20:21], vcc
	s_cbranch_execz .LBB8_1431
; %bb.1430:                             ;   in Loop: Header=BB8_1362 Depth=1
	s_bcnt1_i32_b64 s11, s[22:23]
	v_mov_b32_e32 v25, s11
	s_waitcnt vmcnt(0)
	global_atomic_add_x2 v[0:1], v[25:26], off offset:8
.LBB8_1431:                             ;   in Loop: Header=BB8_1362 Depth=1
	s_or_b64 exec, exec, s[20:21]
	s_waitcnt vmcnt(0)
	global_load_dwordx2 v[2:3], v[0:1], off offset:16
	s_waitcnt vmcnt(0)
	v_cmp_eq_u64_e32 vcc, 0, v[2:3]
	s_cbranch_vccnz .LBB8_1433
; %bb.1432:                             ;   in Loop: Header=BB8_1362 Depth=1
	global_load_dword v25, v[0:1], off offset:24
	s_waitcnt vmcnt(0)
	v_and_b32_e32 v0, 0xffffff, v25
	v_readfirstlane_b32 m0, v0
	global_store_dwordx2 v[2:3], v[25:26], off
	s_sendmsg sendmsg(MSG_INTERRUPT)
.LBB8_1433:                             ;   in Loop: Header=BB8_1362 Depth=1
	s_or_b64 exec, exec, s[18:19]
	v_add_co_u32_e32 v0, vcc, v24, v42
	v_addc_co_u32_e32 v1, vcc, 0, v30, vcc
	s_branch .LBB8_1437
.LBB8_1434:                             ;   in Loop: Header=BB8_1437 Depth=2
	s_or_b64 exec, exec, s[18:19]
	v_readfirstlane_b32 s11, v2
	s_cmp_eq_u32 s11, 0
	s_cbranch_scc1 .LBB8_1436
; %bb.1435:                             ;   in Loop: Header=BB8_1437 Depth=2
	s_sleep 1
	s_cbranch_execnz .LBB8_1437
	s_branch .LBB8_1439
.LBB8_1436:                             ;   in Loop: Header=BB8_1362 Depth=1
	s_branch .LBB8_1439
.LBB8_1437:                             ;   Parent Loop BB8_1362 Depth=1
                                        ; =>  This Inner Loop Header: Depth=2
	v_mov_b32_e32 v2, 1
	s_and_saveexec_b64 s[18:19], s[6:7]
	s_cbranch_execz .LBB8_1434
; %bb.1438:                             ;   in Loop: Header=BB8_1437 Depth=2
	global_load_dword v2, v[27:28], off offset:20 glc
	s_waitcnt vmcnt(0)
	buffer_wbinvl1_vol
	v_and_b32_e32 v2, 1, v2
	s_branch .LBB8_1434
.LBB8_1439:                             ;   in Loop: Header=BB8_1362 Depth=1
	global_load_dwordx4 v[0:3], v[0:1], off
	s_and_saveexec_b64 s[18:19], s[6:7]
	s_cbranch_execz .LBB8_1361
; %bb.1440:                             ;   in Loop: Header=BB8_1362 Depth=1
	global_load_dwordx2 v[2:3], v26, s[50:51] offset:40
	global_load_dwordx2 v[6:7], v26, s[50:51] offset:24 glc
	global_load_dwordx2 v[13:14], v26, s[50:51]
	v_mov_b32_e32 v11, s17
	s_waitcnt vmcnt(2)
	v_add_co_u32_e32 v12, vcc, 1, v2
	v_addc_co_u32_e32 v15, vcc, 0, v3, vcc
	v_add_co_u32_e32 v10, vcc, s16, v12
	v_addc_co_u32_e32 v11, vcc, v15, v11, vcc
	v_cmp_eq_u64_e32 vcc, 0, v[10:11]
	v_cndmask_b32_e32 v11, v11, v15, vcc
	v_cndmask_b32_e32 v10, v10, v12, vcc
	v_and_b32_e32 v3, v11, v3
	v_and_b32_e32 v2, v10, v2
	v_mul_lo_u32 v3, v3, 24
	v_mul_hi_u32 v15, v2, 24
	v_mul_lo_u32 v2, v2, 24
	s_waitcnt vmcnt(1)
	v_mov_b32_e32 v12, v6
	v_add_u32_e32 v3, v15, v3
	s_waitcnt vmcnt(0)
	v_add_co_u32_e32 v2, vcc, v13, v2
	v_addc_co_u32_e32 v3, vcc, v14, v3, vcc
	global_store_dwordx2 v[2:3], v[6:7], off
	v_mov_b32_e32 v13, v7
	s_waitcnt vmcnt(0)
	global_atomic_cmpswap_x2 v[12:13], v26, v[10:13], s[50:51] offset:24 glc
	s_waitcnt vmcnt(0)
	v_cmp_ne_u64_e32 vcc, v[12:13], v[6:7]
	s_and_b64 exec, exec, vcc
	s_cbranch_execz .LBB8_1361
; %bb.1441:                             ;   in Loop: Header=BB8_1362 Depth=1
	s_mov_b64 s[6:7], 0
.LBB8_1442:                             ;   Parent Loop BB8_1362 Depth=1
                                        ; =>  This Inner Loop Header: Depth=2
	s_sleep 1
	global_store_dwordx2 v[2:3], v[12:13], off
	s_waitcnt vmcnt(0)
	global_atomic_cmpswap_x2 v[6:7], v26, v[10:13], s[50:51] offset:24 glc
	s_waitcnt vmcnt(0)
	v_cmp_eq_u64_e32 vcc, v[6:7], v[12:13]
	v_mov_b32_e32 v13, v7
	s_or_b64 s[6:7], vcc, s[6:7]
	v_mov_b32_e32 v12, v6
	s_andn2_b64 exec, exec, s[6:7]
	s_cbranch_execnz .LBB8_1442
	s_branch .LBB8_1361
.LBB8_1443:
	s_mov_b64 s[6:7], 0
	s_branch .LBB8_1445
.LBB8_1444:
	s_mov_b64 s[6:7], -1
                                        ; implicit-def: $vgpr0_vgpr1
.LBB8_1445:
	s_and_b64 vcc, exec, s[6:7]
	s_cbranch_vccz .LBB8_1472
; %bb.1446:
	v_readfirstlane_b32 s6, v43
	v_mov_b32_e32 v7, 0
	v_mov_b32_e32 v8, 0
	v_cmp_eq_u32_e64 s[6:7], s6, v43
	s_and_saveexec_b64 s[8:9], s[6:7]
	s_cbranch_execz .LBB8_1452
; %bb.1447:
	s_waitcnt vmcnt(0)
	v_mov_b32_e32 v0, 0
	global_load_dwordx2 v[9:10], v0, s[50:51] offset:24 glc
	s_waitcnt vmcnt(0)
	buffer_wbinvl1_vol
	global_load_dwordx2 v[1:2], v0, s[50:51] offset:40
	global_load_dwordx2 v[6:7], v0, s[50:51]
	s_waitcnt vmcnt(1)
	v_and_b32_e32 v1, v1, v9
	v_and_b32_e32 v2, v2, v10
	v_mul_lo_u32 v2, v2, 24
	v_mul_hi_u32 v3, v1, 24
	v_mul_lo_u32 v1, v1, 24
	v_add_u32_e32 v2, v3, v2
	s_waitcnt vmcnt(0)
	v_add_co_u32_e32 v1, vcc, v6, v1
	v_addc_co_u32_e32 v2, vcc, v7, v2, vcc
	global_load_dwordx2 v[7:8], v[1:2], off glc
	s_waitcnt vmcnt(0)
	global_atomic_cmpswap_x2 v[7:8], v0, v[7:10], s[50:51] offset:24 glc
	s_waitcnt vmcnt(0)
	buffer_wbinvl1_vol
	v_cmp_ne_u64_e32 vcc, v[7:8], v[9:10]
	s_and_saveexec_b64 s[12:13], vcc
	s_cbranch_execz .LBB8_1451
; %bb.1448:
	s_mov_b64 s[14:15], 0
.LBB8_1449:                             ; =>This Inner Loop Header: Depth=1
	s_sleep 1
	global_load_dwordx2 v[1:2], v0, s[50:51] offset:40
	global_load_dwordx2 v[11:12], v0, s[50:51]
	v_mov_b32_e32 v10, v8
	v_mov_b32_e32 v9, v7
	s_waitcnt vmcnt(1)
	v_and_b32_e32 v1, v1, v9
	s_waitcnt vmcnt(0)
	v_mad_u64_u32 v[6:7], s[16:17], v1, 24, v[11:12]
	v_and_b32_e32 v2, v2, v10
	v_mov_b32_e32 v1, v7
	v_mad_u64_u32 v[1:2], s[16:17], v2, 24, v[1:2]
	v_mov_b32_e32 v7, v1
	global_load_dwordx2 v[7:8], v[6:7], off glc
	s_waitcnt vmcnt(0)
	global_atomic_cmpswap_x2 v[7:8], v0, v[7:10], s[50:51] offset:24 glc
	s_waitcnt vmcnt(0)
	buffer_wbinvl1_vol
	v_cmp_eq_u64_e32 vcc, v[7:8], v[9:10]
	s_or_b64 s[14:15], vcc, s[14:15]
	s_andn2_b64 exec, exec, s[14:15]
	s_cbranch_execnz .LBB8_1449
; %bb.1450:
	s_or_b64 exec, exec, s[14:15]
.LBB8_1451:
	s_or_b64 exec, exec, s[12:13]
.LBB8_1452:
	s_or_b64 exec, exec, s[8:9]
	v_mov_b32_e32 v6, 0
	global_load_dwordx2 v[9:10], v6, s[50:51] offset:40
	global_load_dwordx4 v[0:3], v6, s[50:51]
	v_readfirstlane_b32 s8, v7
	v_readfirstlane_b32 s9, v8
	s_mov_b64 s[12:13], exec
	s_waitcnt vmcnt(1)
	v_readfirstlane_b32 s14, v9
	v_readfirstlane_b32 s15, v10
	s_and_b64 s[14:15], s[8:9], s[14:15]
	s_mul_i32 s11, s15, 24
	s_mul_hi_u32 s16, s14, 24
	s_mul_i32 s17, s14, 24
	s_add_i32 s11, s16, s11
	v_mov_b32_e32 v7, s11
	s_waitcnt vmcnt(0)
	v_add_co_u32_e32 v8, vcc, s17, v0
	v_addc_co_u32_e32 v9, vcc, v1, v7, vcc
	s_and_saveexec_b64 s[16:17], s[6:7]
	s_cbranch_execz .LBB8_1454
; %bb.1453:
	v_mov_b32_e32 v10, s12
	v_mov_b32_e32 v11, s13
	;; [unrolled: 1-line block ×4, first 2 shown]
	global_store_dwordx4 v[8:9], v[10:13], off offset:8
.LBB8_1454:
	s_or_b64 exec, exec, s[16:17]
	s_lshl_b64 s[12:13], s[14:15], 12
	v_mov_b32_e32 v7, s13
	v_add_co_u32_e32 v2, vcc, s12, v2
	v_addc_co_u32_e32 v3, vcc, v3, v7, vcc
	s_movk_i32 s11, 0xff1f
	v_and_or_b32 v4, v4, s11, 32
	v_add_co_u32_e32 v10, vcc, v2, v42
	s_mov_b32 s12, 0
	v_mov_b32_e32 v7, v6
	v_readfirstlane_b32 s16, v2
	v_readfirstlane_b32 s17, v3
	v_addc_co_u32_e32 v11, vcc, 0, v3, vcc
	s_mov_b32 s13, s12
	s_mov_b32 s14, s12
	;; [unrolled: 1-line block ×3, first 2 shown]
	s_nop 0
	global_store_dwordx4 v42, v[4:7], s[16:17]
	v_mov_b32_e32 v2, s12
	v_mov_b32_e32 v3, s13
	;; [unrolled: 1-line block ×4, first 2 shown]
	global_store_dwordx4 v42, v[2:5], s[16:17] offset:16
	global_store_dwordx4 v42, v[2:5], s[16:17] offset:32
	;; [unrolled: 1-line block ×3, first 2 shown]
	s_and_saveexec_b64 s[12:13], s[6:7]
	s_cbranch_execz .LBB8_1462
; %bb.1455:
	v_mov_b32_e32 v6, 0
	global_load_dwordx2 v[14:15], v6, s[50:51] offset:32 glc
	global_load_dwordx2 v[2:3], v6, s[50:51] offset:40
	v_mov_b32_e32 v12, s8
	v_mov_b32_e32 v13, s9
	s_waitcnt vmcnt(0)
	v_readfirstlane_b32 s14, v2
	v_readfirstlane_b32 s15, v3
	s_and_b64 s[14:15], s[14:15], s[8:9]
	s_mul_i32 s11, s15, 24
	s_mul_hi_u32 s15, s14, 24
	s_mul_i32 s14, s14, 24
	s_add_i32 s11, s15, s11
	v_mov_b32_e32 v2, s11
	v_add_co_u32_e32 v4, vcc, s14, v0
	v_addc_co_u32_e32 v5, vcc, v1, v2, vcc
	global_store_dwordx2 v[4:5], v[14:15], off
	s_waitcnt vmcnt(0)
	global_atomic_cmpswap_x2 v[2:3], v6, v[12:15], s[50:51] offset:32 glc
	s_waitcnt vmcnt(0)
	v_cmp_ne_u64_e32 vcc, v[2:3], v[14:15]
	s_and_saveexec_b64 s[14:15], vcc
	s_cbranch_execz .LBB8_1458
; %bb.1456:
	s_mov_b64 s[16:17], 0
.LBB8_1457:                             ; =>This Inner Loop Header: Depth=1
	s_sleep 1
	global_store_dwordx2 v[4:5], v[2:3], off
	v_mov_b32_e32 v0, s8
	v_mov_b32_e32 v1, s9
	s_waitcnt vmcnt(0)
	global_atomic_cmpswap_x2 v[0:1], v6, v[0:3], s[50:51] offset:32 glc
	s_waitcnt vmcnt(0)
	v_cmp_eq_u64_e32 vcc, v[0:1], v[2:3]
	v_mov_b32_e32 v3, v1
	s_or_b64 s[16:17], vcc, s[16:17]
	v_mov_b32_e32 v2, v0
	s_andn2_b64 exec, exec, s[16:17]
	s_cbranch_execnz .LBB8_1457
.LBB8_1458:
	s_or_b64 exec, exec, s[14:15]
	v_mov_b32_e32 v3, 0
	global_load_dwordx2 v[0:1], v3, s[50:51] offset:16
	s_mov_b64 s[14:15], exec
	v_mbcnt_lo_u32_b32 v2, s14, 0
	v_mbcnt_hi_u32_b32 v2, s15, v2
	v_cmp_eq_u32_e32 vcc, 0, v2
	s_and_saveexec_b64 s[16:17], vcc
	s_cbranch_execz .LBB8_1460
; %bb.1459:
	s_bcnt1_i32_b64 s11, s[14:15]
	v_mov_b32_e32 v2, s11
	s_waitcnt vmcnt(0)
	global_atomic_add_x2 v[0:1], v[2:3], off offset:8
.LBB8_1460:
	s_or_b64 exec, exec, s[16:17]
	s_waitcnt vmcnt(0)
	global_load_dwordx2 v[2:3], v[0:1], off offset:16
	s_waitcnt vmcnt(0)
	v_cmp_eq_u64_e32 vcc, 0, v[2:3]
	s_cbranch_vccnz .LBB8_1462
; %bb.1461:
	global_load_dword v0, v[0:1], off offset:24
	v_mov_b32_e32 v1, 0
	s_waitcnt vmcnt(0)
	global_store_dwordx2 v[2:3], v[0:1], off
	v_and_b32_e32 v0, 0xffffff, v0
	v_readfirstlane_b32 m0, v0
	s_sendmsg sendmsg(MSG_INTERRUPT)
.LBB8_1462:
	s_or_b64 exec, exec, s[12:13]
	s_branch .LBB8_1466
.LBB8_1463:                             ;   in Loop: Header=BB8_1466 Depth=1
	s_or_b64 exec, exec, s[12:13]
	v_readfirstlane_b32 s11, v0
	s_cmp_eq_u32 s11, 0
	s_cbranch_scc1 .LBB8_1465
; %bb.1464:                             ;   in Loop: Header=BB8_1466 Depth=1
	s_sleep 1
	s_cbranch_execnz .LBB8_1466
	s_branch .LBB8_1468
.LBB8_1465:
	s_branch .LBB8_1468
.LBB8_1466:                             ; =>This Inner Loop Header: Depth=1
	v_mov_b32_e32 v0, 1
	s_and_saveexec_b64 s[12:13], s[6:7]
	s_cbranch_execz .LBB8_1463
; %bb.1467:                             ;   in Loop: Header=BB8_1466 Depth=1
	global_load_dword v0, v[8:9], off offset:20 glc
	s_waitcnt vmcnt(0)
	buffer_wbinvl1_vol
	v_and_b32_e32 v0, 1, v0
	s_branch .LBB8_1463
.LBB8_1468:
	global_load_dwordx2 v[0:1], v[10:11], off
	s_and_saveexec_b64 s[12:13], s[6:7]
	s_cbranch_execz .LBB8_1471
; %bb.1469:
	v_mov_b32_e32 v8, 0
	global_load_dwordx2 v[4:5], v8, s[50:51] offset:40
	global_load_dwordx2 v[9:10], v8, s[50:51] offset:24 glc
	global_load_dwordx2 v[6:7], v8, s[50:51]
	v_mov_b32_e32 v3, s9
	s_mov_b64 s[6:7], 0
	s_waitcnt vmcnt(2)
	v_add_co_u32_e32 v11, vcc, 1, v4
	v_addc_co_u32_e32 v12, vcc, 0, v5, vcc
	v_add_co_u32_e32 v2, vcc, s8, v11
	v_addc_co_u32_e32 v3, vcc, v12, v3, vcc
	v_cmp_eq_u64_e32 vcc, 0, v[2:3]
	v_cndmask_b32_e32 v3, v3, v12, vcc
	v_cndmask_b32_e32 v2, v2, v11, vcc
	v_and_b32_e32 v5, v3, v5
	v_and_b32_e32 v4, v2, v4
	v_mul_lo_u32 v5, v5, 24
	v_mul_hi_u32 v11, v4, 24
	v_mul_lo_u32 v12, v4, 24
	s_waitcnt vmcnt(1)
	v_mov_b32_e32 v4, v9
	v_add_u32_e32 v5, v11, v5
	s_waitcnt vmcnt(0)
	v_add_co_u32_e32 v6, vcc, v6, v12
	v_addc_co_u32_e32 v7, vcc, v7, v5, vcc
	global_store_dwordx2 v[6:7], v[9:10], off
	v_mov_b32_e32 v5, v10
	s_waitcnt vmcnt(0)
	global_atomic_cmpswap_x2 v[4:5], v8, v[2:5], s[50:51] offset:24 glc
	s_waitcnt vmcnt(0)
	v_cmp_ne_u64_e32 vcc, v[4:5], v[9:10]
	s_and_b64 exec, exec, vcc
	s_cbranch_execz .LBB8_1471
.LBB8_1470:                             ; =>This Inner Loop Header: Depth=1
	s_sleep 1
	global_store_dwordx2 v[6:7], v[4:5], off
	s_waitcnt vmcnt(0)
	global_atomic_cmpswap_x2 v[9:10], v8, v[2:5], s[50:51] offset:24 glc
	s_waitcnt vmcnt(0)
	v_cmp_eq_u64_e32 vcc, v[9:10], v[4:5]
	v_mov_b32_e32 v4, v9
	s_or_b64 s[6:7], vcc, s[6:7]
	v_mov_b32_e32 v5, v10
	s_andn2_b64 exec, exec, s[6:7]
	s_cbranch_execnz .LBB8_1470
.LBB8_1471:
	s_or_b64 exec, exec, s[12:13]
.LBB8_1472:
	s_getpc_b64 s[8:9]
	s_add_u32 s8, s8, .str.2@rel32@lo+4
	s_addc_u32 s9, s9, .str.2@rel32@hi+12
	s_cmp_lg_u64 s[8:9], 0
	s_cbranch_scc0 .LBB8_1557
; %bb.1473:
	s_waitcnt vmcnt(0)
	v_and_b32_e32 v6, -3, v0
	v_mov_b32_e32 v7, v1
	s_mov_b64 s[12:13], 13
	v_mov_b32_e32 v26, 0
	v_mov_b32_e32 v4, 2
	;; [unrolled: 1-line block ×3, first 2 shown]
	s_branch .LBB8_1475
.LBB8_1474:                             ;   in Loop: Header=BB8_1475 Depth=1
	s_or_b64 exec, exec, s[18:19]
	s_sub_u32 s12, s12, s14
	s_subb_u32 s13, s13, s15
	s_add_u32 s8, s8, s14
	s_addc_u32 s9, s9, s15
	s_cmp_lg_u64 s[12:13], 0
	s_cbranch_scc0 .LBB8_1556
.LBB8_1475:                             ; =>This Loop Header: Depth=1
                                        ;     Child Loop BB8_1478 Depth 2
                                        ;     Child Loop BB8_1485 Depth 2
	;; [unrolled: 1-line block ×11, first 2 shown]
	v_cmp_lt_u64_e64 s[6:7], s[12:13], 56
	v_cmp_gt_u64_e64 s[16:17], s[12:13], 7
	s_and_b64 s[6:7], s[6:7], exec
	s_cselect_b32 s15, s13, 0
	s_cselect_b32 s14, s12, 56
	s_and_b64 vcc, exec, s[16:17]
	s_cbranch_vccnz .LBB8_1480
; %bb.1476:                             ;   in Loop: Header=BB8_1475 Depth=1
	s_waitcnt vmcnt(0)
	v_mov_b32_e32 v8, 0
	s_cmp_eq_u64 s[12:13], 0
	v_mov_b32_e32 v9, 0
	s_mov_b64 s[6:7], 0
	s_cbranch_scc1 .LBB8_1479
; %bb.1477:                             ;   in Loop: Header=BB8_1475 Depth=1
	v_mov_b32_e32 v8, 0
	s_lshl_b64 s[16:17], s[14:15], 3
	s_mov_b64 s[18:19], 0
	v_mov_b32_e32 v9, 0
	s_mov_b64 s[20:21], s[8:9]
.LBB8_1478:                             ;   Parent Loop BB8_1475 Depth=1
                                        ; =>  This Inner Loop Header: Depth=2
	global_load_ubyte v2, v26, s[20:21]
	s_waitcnt vmcnt(0)
	v_and_b32_e32 v25, 0xffff, v2
	v_lshlrev_b64 v[2:3], s18, v[25:26]
	s_add_u32 s18, s18, 8
	s_addc_u32 s19, s19, 0
	s_add_u32 s20, s20, 1
	s_addc_u32 s21, s21, 0
	v_or_b32_e32 v8, v2, v8
	s_cmp_lg_u32 s16, s18
	v_or_b32_e32 v9, v3, v9
	s_cbranch_scc1 .LBB8_1478
.LBB8_1479:                             ;   in Loop: Header=BB8_1475 Depth=1
	s_mov_b32 s11, 0
	s_andn2_b64 vcc, exec, s[6:7]
	s_mov_b64 s[6:7], s[8:9]
	s_cbranch_vccz .LBB8_1481
	s_branch .LBB8_1482
.LBB8_1480:                             ;   in Loop: Header=BB8_1475 Depth=1
                                        ; implicit-def: $sgpr11
	s_mov_b64 s[6:7], s[8:9]
.LBB8_1481:                             ;   in Loop: Header=BB8_1475 Depth=1
	global_load_dwordx2 v[8:9], v26, s[8:9]
	s_add_i32 s11, s14, -8
	s_add_u32 s6, s8, 8
	s_addc_u32 s7, s9, 0
.LBB8_1482:                             ;   in Loop: Header=BB8_1475 Depth=1
	s_cmp_gt_u32 s11, 7
	s_cbranch_scc1 .LBB8_1486
; %bb.1483:                             ;   in Loop: Header=BB8_1475 Depth=1
	s_cmp_eq_u32 s11, 0
	s_cbranch_scc1 .LBB8_1487
; %bb.1484:                             ;   in Loop: Header=BB8_1475 Depth=1
	v_mov_b32_e32 v10, 0
	s_mov_b64 s[16:17], 0
	v_mov_b32_e32 v11, 0
	s_mov_b64 s[18:19], 0
.LBB8_1485:                             ;   Parent Loop BB8_1475 Depth=1
                                        ; =>  This Inner Loop Header: Depth=2
	s_add_u32 s20, s6, s18
	s_addc_u32 s21, s7, s19
	global_load_ubyte v2, v26, s[20:21]
	s_add_u32 s18, s18, 1
	s_addc_u32 s19, s19, 0
	s_waitcnt vmcnt(0)
	v_and_b32_e32 v25, 0xffff, v2
	v_lshlrev_b64 v[2:3], s16, v[25:26]
	s_add_u32 s16, s16, 8
	s_addc_u32 s17, s17, 0
	v_or_b32_e32 v10, v2, v10
	s_cmp_lg_u32 s11, s18
	v_or_b32_e32 v11, v3, v11
	s_cbranch_scc1 .LBB8_1485
	s_branch .LBB8_1488
.LBB8_1486:                             ;   in Loop: Header=BB8_1475 Depth=1
                                        ; implicit-def: $vgpr10_vgpr11
                                        ; implicit-def: $sgpr20
	s_branch .LBB8_1489
.LBB8_1487:                             ;   in Loop: Header=BB8_1475 Depth=1
	v_mov_b32_e32 v10, 0
	v_mov_b32_e32 v11, 0
.LBB8_1488:                             ;   in Loop: Header=BB8_1475 Depth=1
	s_mov_b32 s20, 0
	s_cbranch_execnz .LBB8_1490
.LBB8_1489:                             ;   in Loop: Header=BB8_1475 Depth=1
	global_load_dwordx2 v[10:11], v26, s[6:7]
	s_add_i32 s20, s11, -8
	s_add_u32 s6, s6, 8
	s_addc_u32 s7, s7, 0
.LBB8_1490:                             ;   in Loop: Header=BB8_1475 Depth=1
	s_cmp_gt_u32 s20, 7
	s_cbranch_scc1 .LBB8_1494
; %bb.1491:                             ;   in Loop: Header=BB8_1475 Depth=1
	s_cmp_eq_u32 s20, 0
	s_cbranch_scc1 .LBB8_1495
; %bb.1492:                             ;   in Loop: Header=BB8_1475 Depth=1
	v_mov_b32_e32 v12, 0
	s_mov_b64 s[16:17], 0
	v_mov_b32_e32 v13, 0
	s_mov_b64 s[18:19], 0
.LBB8_1493:                             ;   Parent Loop BB8_1475 Depth=1
                                        ; =>  This Inner Loop Header: Depth=2
	s_add_u32 s22, s6, s18
	s_addc_u32 s23, s7, s19
	global_load_ubyte v2, v26, s[22:23]
	s_add_u32 s18, s18, 1
	s_addc_u32 s19, s19, 0
	s_waitcnt vmcnt(0)
	v_and_b32_e32 v25, 0xffff, v2
	v_lshlrev_b64 v[2:3], s16, v[25:26]
	s_add_u32 s16, s16, 8
	s_addc_u32 s17, s17, 0
	v_or_b32_e32 v12, v2, v12
	s_cmp_lg_u32 s20, s18
	v_or_b32_e32 v13, v3, v13
	s_cbranch_scc1 .LBB8_1493
	s_branch .LBB8_1496
.LBB8_1494:                             ;   in Loop: Header=BB8_1475 Depth=1
                                        ; implicit-def: $sgpr11
	s_branch .LBB8_1497
.LBB8_1495:                             ;   in Loop: Header=BB8_1475 Depth=1
	v_mov_b32_e32 v12, 0
	v_mov_b32_e32 v13, 0
.LBB8_1496:                             ;   in Loop: Header=BB8_1475 Depth=1
	s_mov_b32 s11, 0
	s_cbranch_execnz .LBB8_1498
.LBB8_1497:                             ;   in Loop: Header=BB8_1475 Depth=1
	global_load_dwordx2 v[12:13], v26, s[6:7]
	s_add_i32 s11, s20, -8
	s_add_u32 s6, s6, 8
	s_addc_u32 s7, s7, 0
.LBB8_1498:                             ;   in Loop: Header=BB8_1475 Depth=1
	s_cmp_gt_u32 s11, 7
	s_cbranch_scc1 .LBB8_1502
; %bb.1499:                             ;   in Loop: Header=BB8_1475 Depth=1
	s_cmp_eq_u32 s11, 0
	s_cbranch_scc1 .LBB8_1503
; %bb.1500:                             ;   in Loop: Header=BB8_1475 Depth=1
	v_mov_b32_e32 v14, 0
	s_mov_b64 s[16:17], 0
	v_mov_b32_e32 v15, 0
	s_mov_b64 s[18:19], 0
.LBB8_1501:                             ;   Parent Loop BB8_1475 Depth=1
                                        ; =>  This Inner Loop Header: Depth=2
	s_add_u32 s20, s6, s18
	s_addc_u32 s21, s7, s19
	global_load_ubyte v2, v26, s[20:21]
	s_add_u32 s18, s18, 1
	s_addc_u32 s19, s19, 0
	s_waitcnt vmcnt(0)
	v_and_b32_e32 v25, 0xffff, v2
	v_lshlrev_b64 v[2:3], s16, v[25:26]
	s_add_u32 s16, s16, 8
	s_addc_u32 s17, s17, 0
	v_or_b32_e32 v14, v2, v14
	s_cmp_lg_u32 s11, s18
	v_or_b32_e32 v15, v3, v15
	s_cbranch_scc1 .LBB8_1501
	s_branch .LBB8_1504
.LBB8_1502:                             ;   in Loop: Header=BB8_1475 Depth=1
                                        ; implicit-def: $vgpr14_vgpr15
                                        ; implicit-def: $sgpr20
	s_branch .LBB8_1505
.LBB8_1503:                             ;   in Loop: Header=BB8_1475 Depth=1
	v_mov_b32_e32 v14, 0
	v_mov_b32_e32 v15, 0
.LBB8_1504:                             ;   in Loop: Header=BB8_1475 Depth=1
	s_mov_b32 s20, 0
	s_cbranch_execnz .LBB8_1506
.LBB8_1505:                             ;   in Loop: Header=BB8_1475 Depth=1
	global_load_dwordx2 v[14:15], v26, s[6:7]
	s_add_i32 s20, s11, -8
	s_add_u32 s6, s6, 8
	s_addc_u32 s7, s7, 0
.LBB8_1506:                             ;   in Loop: Header=BB8_1475 Depth=1
	s_cmp_gt_u32 s20, 7
	s_cbranch_scc1 .LBB8_1510
; %bb.1507:                             ;   in Loop: Header=BB8_1475 Depth=1
	s_cmp_eq_u32 s20, 0
	s_cbranch_scc1 .LBB8_1511
; %bb.1508:                             ;   in Loop: Header=BB8_1475 Depth=1
	v_mov_b32_e32 v16, 0
	s_mov_b64 s[16:17], 0
	v_mov_b32_e32 v17, 0
	s_mov_b64 s[18:19], 0
.LBB8_1509:                             ;   Parent Loop BB8_1475 Depth=1
                                        ; =>  This Inner Loop Header: Depth=2
	s_add_u32 s22, s6, s18
	s_addc_u32 s23, s7, s19
	global_load_ubyte v2, v26, s[22:23]
	s_add_u32 s18, s18, 1
	s_addc_u32 s19, s19, 0
	s_waitcnt vmcnt(0)
	v_and_b32_e32 v25, 0xffff, v2
	v_lshlrev_b64 v[2:3], s16, v[25:26]
	s_add_u32 s16, s16, 8
	s_addc_u32 s17, s17, 0
	v_or_b32_e32 v16, v2, v16
	s_cmp_lg_u32 s20, s18
	v_or_b32_e32 v17, v3, v17
	s_cbranch_scc1 .LBB8_1509
	s_branch .LBB8_1512
.LBB8_1510:                             ;   in Loop: Header=BB8_1475 Depth=1
                                        ; implicit-def: $sgpr11
	s_branch .LBB8_1513
.LBB8_1511:                             ;   in Loop: Header=BB8_1475 Depth=1
	v_mov_b32_e32 v16, 0
	v_mov_b32_e32 v17, 0
.LBB8_1512:                             ;   in Loop: Header=BB8_1475 Depth=1
	s_mov_b32 s11, 0
	s_cbranch_execnz .LBB8_1514
.LBB8_1513:                             ;   in Loop: Header=BB8_1475 Depth=1
	global_load_dwordx2 v[16:17], v26, s[6:7]
	s_add_i32 s11, s20, -8
	s_add_u32 s6, s6, 8
	s_addc_u32 s7, s7, 0
.LBB8_1514:                             ;   in Loop: Header=BB8_1475 Depth=1
	s_cmp_gt_u32 s11, 7
	s_cbranch_scc1 .LBB8_1518
; %bb.1515:                             ;   in Loop: Header=BB8_1475 Depth=1
	s_cmp_eq_u32 s11, 0
	s_cbranch_scc1 .LBB8_1519
; %bb.1516:                             ;   in Loop: Header=BB8_1475 Depth=1
	v_mov_b32_e32 v18, 0
	s_mov_b64 s[16:17], 0
	v_mov_b32_e32 v19, 0
	s_mov_b64 s[18:19], 0
.LBB8_1517:                             ;   Parent Loop BB8_1475 Depth=1
                                        ; =>  This Inner Loop Header: Depth=2
	s_add_u32 s20, s6, s18
	s_addc_u32 s21, s7, s19
	global_load_ubyte v2, v26, s[20:21]
	s_add_u32 s18, s18, 1
	s_addc_u32 s19, s19, 0
	s_waitcnt vmcnt(0)
	v_and_b32_e32 v25, 0xffff, v2
	v_lshlrev_b64 v[2:3], s16, v[25:26]
	s_add_u32 s16, s16, 8
	s_addc_u32 s17, s17, 0
	v_or_b32_e32 v18, v2, v18
	s_cmp_lg_u32 s11, s18
	v_or_b32_e32 v19, v3, v19
	s_cbranch_scc1 .LBB8_1517
	s_branch .LBB8_1520
.LBB8_1518:                             ;   in Loop: Header=BB8_1475 Depth=1
                                        ; implicit-def: $vgpr18_vgpr19
                                        ; implicit-def: $sgpr20
	s_branch .LBB8_1521
.LBB8_1519:                             ;   in Loop: Header=BB8_1475 Depth=1
	v_mov_b32_e32 v18, 0
	v_mov_b32_e32 v19, 0
.LBB8_1520:                             ;   in Loop: Header=BB8_1475 Depth=1
	s_mov_b32 s20, 0
	s_cbranch_execnz .LBB8_1522
.LBB8_1521:                             ;   in Loop: Header=BB8_1475 Depth=1
	global_load_dwordx2 v[18:19], v26, s[6:7]
	s_add_i32 s20, s11, -8
	s_add_u32 s6, s6, 8
	s_addc_u32 s7, s7, 0
.LBB8_1522:                             ;   in Loop: Header=BB8_1475 Depth=1
	s_cmp_gt_u32 s20, 7
	s_cbranch_scc1 .LBB8_1526
; %bb.1523:                             ;   in Loop: Header=BB8_1475 Depth=1
	s_cmp_eq_u32 s20, 0
	s_cbranch_scc1 .LBB8_1527
; %bb.1524:                             ;   in Loop: Header=BB8_1475 Depth=1
	v_mov_b32_e32 v20, 0
	s_mov_b64 s[16:17], 0
	v_mov_b32_e32 v21, 0
	s_mov_b64 s[18:19], s[6:7]
.LBB8_1525:                             ;   Parent Loop BB8_1475 Depth=1
                                        ; =>  This Inner Loop Header: Depth=2
	global_load_ubyte v2, v26, s[18:19]
	s_add_i32 s20, s20, -1
	s_waitcnt vmcnt(0)
	v_and_b32_e32 v25, 0xffff, v2
	v_lshlrev_b64 v[2:3], s16, v[25:26]
	s_add_u32 s16, s16, 8
	s_addc_u32 s17, s17, 0
	s_add_u32 s18, s18, 1
	s_addc_u32 s19, s19, 0
	v_or_b32_e32 v20, v2, v20
	s_cmp_lg_u32 s20, 0
	v_or_b32_e32 v21, v3, v21
	s_cbranch_scc1 .LBB8_1525
	s_branch .LBB8_1528
.LBB8_1526:                             ;   in Loop: Header=BB8_1475 Depth=1
	s_branch .LBB8_1529
.LBB8_1527:                             ;   in Loop: Header=BB8_1475 Depth=1
	v_mov_b32_e32 v20, 0
	v_mov_b32_e32 v21, 0
.LBB8_1528:                             ;   in Loop: Header=BB8_1475 Depth=1
	s_cbranch_execnz .LBB8_1530
.LBB8_1529:                             ;   in Loop: Header=BB8_1475 Depth=1
	global_load_dwordx2 v[20:21], v26, s[6:7]
.LBB8_1530:                             ;   in Loop: Header=BB8_1475 Depth=1
	v_readfirstlane_b32 s6, v43
	v_mov_b32_e32 v2, 0
	v_mov_b32_e32 v3, 0
	v_cmp_eq_u32_e64 s[6:7], s6, v43
	s_and_saveexec_b64 s[16:17], s[6:7]
	s_cbranch_execz .LBB8_1536
; %bb.1531:                             ;   in Loop: Header=BB8_1475 Depth=1
	global_load_dwordx2 v[24:25], v26, s[50:51] offset:24 glc
	s_waitcnt vmcnt(0)
	buffer_wbinvl1_vol
	global_load_dwordx2 v[2:3], v26, s[50:51] offset:40
	global_load_dwordx2 v[22:23], v26, s[50:51]
	s_waitcnt vmcnt(1)
	v_and_b32_e32 v2, v2, v24
	v_and_b32_e32 v3, v3, v25
	v_mul_lo_u32 v3, v3, 24
	v_mul_hi_u32 v27, v2, 24
	v_mul_lo_u32 v2, v2, 24
	v_add_u32_e32 v3, v27, v3
	s_waitcnt vmcnt(0)
	v_add_co_u32_e32 v2, vcc, v22, v2
	v_addc_co_u32_e32 v3, vcc, v23, v3, vcc
	global_load_dwordx2 v[22:23], v[2:3], off glc
	s_waitcnt vmcnt(0)
	global_atomic_cmpswap_x2 v[2:3], v26, v[22:25], s[50:51] offset:24 glc
	s_waitcnt vmcnt(0)
	buffer_wbinvl1_vol
	v_cmp_ne_u64_e32 vcc, v[2:3], v[24:25]
	s_and_saveexec_b64 s[18:19], vcc
	s_cbranch_execz .LBB8_1535
; %bb.1532:                             ;   in Loop: Header=BB8_1475 Depth=1
	s_mov_b64 s[20:21], 0
.LBB8_1533:                             ;   Parent Loop BB8_1475 Depth=1
                                        ; =>  This Inner Loop Header: Depth=2
	s_sleep 1
	global_load_dwordx2 v[22:23], v26, s[50:51] offset:40
	global_load_dwordx2 v[27:28], v26, s[50:51]
	v_mov_b32_e32 v25, v3
	v_mov_b32_e32 v24, v2
	s_waitcnt vmcnt(1)
	v_and_b32_e32 v2, v22, v24
	s_waitcnt vmcnt(0)
	v_mad_u64_u32 v[2:3], s[22:23], v2, 24, v[27:28]
	v_and_b32_e32 v22, v23, v25
	v_mad_u64_u32 v[22:23], s[22:23], v22, 24, v[3:4]
	v_mov_b32_e32 v3, v22
	global_load_dwordx2 v[22:23], v[2:3], off glc
	s_waitcnt vmcnt(0)
	global_atomic_cmpswap_x2 v[2:3], v26, v[22:25], s[50:51] offset:24 glc
	s_waitcnt vmcnt(0)
	buffer_wbinvl1_vol
	v_cmp_eq_u64_e32 vcc, v[2:3], v[24:25]
	s_or_b64 s[20:21], vcc, s[20:21]
	s_andn2_b64 exec, exec, s[20:21]
	s_cbranch_execnz .LBB8_1533
; %bb.1534:                             ;   in Loop: Header=BB8_1475 Depth=1
	s_or_b64 exec, exec, s[20:21]
.LBB8_1535:                             ;   in Loop: Header=BB8_1475 Depth=1
	s_or_b64 exec, exec, s[18:19]
.LBB8_1536:                             ;   in Loop: Header=BB8_1475 Depth=1
	s_or_b64 exec, exec, s[16:17]
	global_load_dwordx2 v[27:28], v26, s[50:51] offset:40
	global_load_dwordx4 v[22:25], v26, s[50:51]
	v_readfirstlane_b32 s16, v2
	v_readfirstlane_b32 s17, v3
	s_mov_b64 s[18:19], exec
	s_waitcnt vmcnt(1)
	v_readfirstlane_b32 s20, v27
	v_readfirstlane_b32 s21, v28
	s_and_b64 s[20:21], s[16:17], s[20:21]
	s_mul_i32 s11, s21, 24
	s_mul_hi_u32 s22, s20, 24
	s_mul_i32 s23, s20, 24
	s_add_i32 s11, s22, s11
	v_mov_b32_e32 v2, s11
	s_waitcnt vmcnt(0)
	v_add_co_u32_e32 v27, vcc, s23, v22
	v_addc_co_u32_e32 v28, vcc, v23, v2, vcc
	s_and_saveexec_b64 s[22:23], s[6:7]
	s_cbranch_execz .LBB8_1538
; %bb.1537:                             ;   in Loop: Header=BB8_1475 Depth=1
	v_mov_b32_e32 v2, s18
	v_mov_b32_e32 v3, s19
	global_store_dwordx4 v[27:28], v[2:5], off offset:8
.LBB8_1538:                             ;   in Loop: Header=BB8_1475 Depth=1
	s_or_b64 exec, exec, s[22:23]
	s_lshl_b64 s[18:19], s[20:21], 12
	v_mov_b32_e32 v2, s19
	v_add_co_u32_e32 v24, vcc, s18, v24
	v_addc_co_u32_e32 v29, vcc, v25, v2, vcc
	v_cmp_gt_u64_e64 vcc, s[12:13], 56
	v_or_b32_e32 v2, 2, v6
	s_lshl_b32 s11, s14, 2
	v_cndmask_b32_e32 v2, v2, v6, vcc
	s_add_i32 s11, s11, 28
	s_and_b32 s11, s11, 0x1e0
	v_and_b32_e32 v2, 0xffffff1f, v2
	v_or_b32_e32 v6, s11, v2
	v_readfirstlane_b32 s18, v24
	v_readfirstlane_b32 s19, v29
	s_nop 4
	global_store_dwordx4 v42, v[6:9], s[18:19]
	global_store_dwordx4 v42, v[10:13], s[18:19] offset:16
	global_store_dwordx4 v42, v[14:17], s[18:19] offset:32
	;; [unrolled: 1-line block ×3, first 2 shown]
	s_and_saveexec_b64 s[18:19], s[6:7]
	s_cbranch_execz .LBB8_1546
; %bb.1539:                             ;   in Loop: Header=BB8_1475 Depth=1
	global_load_dwordx2 v[10:11], v26, s[50:51] offset:32 glc
	global_load_dwordx2 v[2:3], v26, s[50:51] offset:40
	v_mov_b32_e32 v8, s16
	v_mov_b32_e32 v9, s17
	s_waitcnt vmcnt(0)
	v_readfirstlane_b32 s20, v2
	v_readfirstlane_b32 s21, v3
	s_and_b64 s[20:21], s[20:21], s[16:17]
	s_mul_i32 s11, s21, 24
	s_mul_hi_u32 s21, s20, 24
	s_mul_i32 s20, s20, 24
	s_add_i32 s11, s21, s11
	v_mov_b32_e32 v3, s11
	v_add_co_u32_e32 v2, vcc, s20, v22
	v_addc_co_u32_e32 v3, vcc, v23, v3, vcc
	global_store_dwordx2 v[2:3], v[10:11], off
	s_waitcnt vmcnt(0)
	global_atomic_cmpswap_x2 v[8:9], v26, v[8:11], s[50:51] offset:32 glc
	s_waitcnt vmcnt(0)
	v_cmp_ne_u64_e32 vcc, v[8:9], v[10:11]
	s_and_saveexec_b64 s[20:21], vcc
	s_cbranch_execz .LBB8_1542
; %bb.1540:                             ;   in Loop: Header=BB8_1475 Depth=1
	s_mov_b64 s[22:23], 0
.LBB8_1541:                             ;   Parent Loop BB8_1475 Depth=1
                                        ; =>  This Inner Loop Header: Depth=2
	s_sleep 1
	global_store_dwordx2 v[2:3], v[8:9], off
	v_mov_b32_e32 v6, s16
	v_mov_b32_e32 v7, s17
	s_waitcnt vmcnt(0)
	global_atomic_cmpswap_x2 v[6:7], v26, v[6:9], s[50:51] offset:32 glc
	s_waitcnt vmcnt(0)
	v_cmp_eq_u64_e32 vcc, v[6:7], v[8:9]
	v_mov_b32_e32 v9, v7
	s_or_b64 s[22:23], vcc, s[22:23]
	v_mov_b32_e32 v8, v6
	s_andn2_b64 exec, exec, s[22:23]
	s_cbranch_execnz .LBB8_1541
.LBB8_1542:                             ;   in Loop: Header=BB8_1475 Depth=1
	s_or_b64 exec, exec, s[20:21]
	global_load_dwordx2 v[2:3], v26, s[50:51] offset:16
	s_mov_b64 s[22:23], exec
	v_mbcnt_lo_u32_b32 v6, s22, 0
	v_mbcnt_hi_u32_b32 v6, s23, v6
	v_cmp_eq_u32_e32 vcc, 0, v6
	s_and_saveexec_b64 s[20:21], vcc
	s_cbranch_execz .LBB8_1544
; %bb.1543:                             ;   in Loop: Header=BB8_1475 Depth=1
	s_bcnt1_i32_b64 s11, s[22:23]
	v_mov_b32_e32 v25, s11
	s_waitcnt vmcnt(0)
	global_atomic_add_x2 v[2:3], v[25:26], off offset:8
.LBB8_1544:                             ;   in Loop: Header=BB8_1475 Depth=1
	s_or_b64 exec, exec, s[20:21]
	s_waitcnt vmcnt(0)
	global_load_dwordx2 v[6:7], v[2:3], off offset:16
	s_waitcnt vmcnt(0)
	v_cmp_eq_u64_e32 vcc, 0, v[6:7]
	s_cbranch_vccnz .LBB8_1546
; %bb.1545:                             ;   in Loop: Header=BB8_1475 Depth=1
	global_load_dword v25, v[2:3], off offset:24
	s_waitcnt vmcnt(0)
	v_and_b32_e32 v2, 0xffffff, v25
	v_readfirstlane_b32 m0, v2
	global_store_dwordx2 v[6:7], v[25:26], off
	s_sendmsg sendmsg(MSG_INTERRUPT)
.LBB8_1546:                             ;   in Loop: Header=BB8_1475 Depth=1
	s_or_b64 exec, exec, s[18:19]
	v_add_co_u32_e32 v2, vcc, v24, v42
	v_addc_co_u32_e32 v3, vcc, 0, v29, vcc
	s_branch .LBB8_1550
.LBB8_1547:                             ;   in Loop: Header=BB8_1550 Depth=2
	s_or_b64 exec, exec, s[18:19]
	v_readfirstlane_b32 s11, v6
	s_cmp_eq_u32 s11, 0
	s_cbranch_scc1 .LBB8_1549
; %bb.1548:                             ;   in Loop: Header=BB8_1550 Depth=2
	s_sleep 1
	s_cbranch_execnz .LBB8_1550
	s_branch .LBB8_1552
.LBB8_1549:                             ;   in Loop: Header=BB8_1475 Depth=1
	s_branch .LBB8_1552
.LBB8_1550:                             ;   Parent Loop BB8_1475 Depth=1
                                        ; =>  This Inner Loop Header: Depth=2
	v_mov_b32_e32 v6, 1
	s_and_saveexec_b64 s[18:19], s[6:7]
	s_cbranch_execz .LBB8_1547
; %bb.1551:                             ;   in Loop: Header=BB8_1550 Depth=2
	global_load_dword v6, v[27:28], off offset:20 glc
	s_waitcnt vmcnt(0)
	buffer_wbinvl1_vol
	v_and_b32_e32 v6, 1, v6
	s_branch .LBB8_1547
.LBB8_1552:                             ;   in Loop: Header=BB8_1475 Depth=1
	global_load_dwordx4 v[6:9], v[2:3], off
	s_and_saveexec_b64 s[18:19], s[6:7]
	s_cbranch_execz .LBB8_1474
; %bb.1553:                             ;   in Loop: Header=BB8_1475 Depth=1
	global_load_dwordx2 v[2:3], v26, s[50:51] offset:40
	global_load_dwordx2 v[12:13], v26, s[50:51] offset:24 glc
	global_load_dwordx2 v[14:15], v26, s[50:51]
	s_waitcnt vmcnt(3)
	v_mov_b32_e32 v9, s17
	s_waitcnt vmcnt(2)
	v_add_co_u32_e32 v10, vcc, 1, v2
	v_addc_co_u32_e32 v11, vcc, 0, v3, vcc
	v_add_co_u32_e32 v8, vcc, s16, v10
	v_addc_co_u32_e32 v9, vcc, v11, v9, vcc
	v_cmp_eq_u64_e32 vcc, 0, v[8:9]
	v_cndmask_b32_e32 v9, v9, v11, vcc
	v_cndmask_b32_e32 v8, v8, v10, vcc
	v_and_b32_e32 v3, v9, v3
	v_and_b32_e32 v2, v8, v2
	v_mul_lo_u32 v3, v3, 24
	v_mul_hi_u32 v11, v2, 24
	v_mul_lo_u32 v2, v2, 24
	s_waitcnt vmcnt(1)
	v_mov_b32_e32 v10, v12
	v_add_u32_e32 v3, v11, v3
	s_waitcnt vmcnt(0)
	v_add_co_u32_e32 v2, vcc, v14, v2
	v_addc_co_u32_e32 v3, vcc, v15, v3, vcc
	global_store_dwordx2 v[2:3], v[12:13], off
	v_mov_b32_e32 v11, v13
	s_waitcnt vmcnt(0)
	global_atomic_cmpswap_x2 v[10:11], v26, v[8:11], s[50:51] offset:24 glc
	s_waitcnt vmcnt(0)
	v_cmp_ne_u64_e32 vcc, v[10:11], v[12:13]
	s_and_b64 exec, exec, vcc
	s_cbranch_execz .LBB8_1474
; %bb.1554:                             ;   in Loop: Header=BB8_1475 Depth=1
	s_mov_b64 s[6:7], 0
.LBB8_1555:                             ;   Parent Loop BB8_1475 Depth=1
                                        ; =>  This Inner Loop Header: Depth=2
	s_sleep 1
	global_store_dwordx2 v[2:3], v[10:11], off
	s_waitcnt vmcnt(0)
	global_atomic_cmpswap_x2 v[12:13], v26, v[8:11], s[50:51] offset:24 glc
	s_waitcnt vmcnt(0)
	v_cmp_eq_u64_e32 vcc, v[12:13], v[10:11]
	v_mov_b32_e32 v10, v12
	s_or_b64 s[6:7], vcc, s[6:7]
	v_mov_b32_e32 v11, v13
	s_andn2_b64 exec, exec, s[6:7]
	s_cbranch_execnz .LBB8_1555
	s_branch .LBB8_1474
.LBB8_1556:
	s_mov_b64 s[6:7], 0
	s_branch .LBB8_1558
.LBB8_1557:
	s_mov_b64 s[6:7], -1
.LBB8_1558:
	s_mov_b32 s41, s10
	s_and_b64 vcc, exec, s[6:7]
	s_cbranch_vccz .LBB8_1585
; %bb.1559:
	v_readfirstlane_b32 s6, v43
	s_waitcnt vmcnt(0)
	v_mov_b32_e32 v8, 0
	v_mov_b32_e32 v9, 0
	v_cmp_eq_u32_e64 s[6:7], s6, v43
	s_and_saveexec_b64 s[8:9], s[6:7]
	s_cbranch_execz .LBB8_1565
; %bb.1560:
	v_mov_b32_e32 v2, 0
	global_load_dwordx2 v[5:6], v2, s[50:51] offset:24 glc
	s_waitcnt vmcnt(0)
	buffer_wbinvl1_vol
	global_load_dwordx2 v[3:4], v2, s[50:51] offset:40
	global_load_dwordx2 v[7:8], v2, s[50:51]
	s_waitcnt vmcnt(1)
	v_and_b32_e32 v3, v3, v5
	v_and_b32_e32 v4, v4, v6
	v_mul_lo_u32 v4, v4, 24
	v_mul_hi_u32 v9, v3, 24
	v_mul_lo_u32 v3, v3, 24
	v_add_u32_e32 v4, v9, v4
	s_waitcnt vmcnt(0)
	v_add_co_u32_e32 v3, vcc, v7, v3
	v_addc_co_u32_e32 v4, vcc, v8, v4, vcc
	global_load_dwordx2 v[3:4], v[3:4], off glc
	s_waitcnt vmcnt(0)
	global_atomic_cmpswap_x2 v[8:9], v2, v[3:6], s[50:51] offset:24 glc
	s_waitcnt vmcnt(0)
	buffer_wbinvl1_vol
	v_cmp_ne_u64_e32 vcc, v[8:9], v[5:6]
	s_and_saveexec_b64 s[10:11], vcc
	s_cbranch_execz .LBB8_1564
; %bb.1561:
	s_mov_b64 s[12:13], 0
.LBB8_1562:                             ; =>This Inner Loop Header: Depth=1
	s_sleep 1
	global_load_dwordx2 v[3:4], v2, s[50:51] offset:40
	global_load_dwordx2 v[10:11], v2, s[50:51]
	v_mov_b32_e32 v5, v8
	v_mov_b32_e32 v6, v9
	s_waitcnt vmcnt(1)
	v_and_b32_e32 v3, v3, v5
	s_waitcnt vmcnt(0)
	v_mad_u64_u32 v[7:8], s[14:15], v3, 24, v[10:11]
	v_and_b32_e32 v4, v4, v6
	v_mov_b32_e32 v3, v8
	v_mad_u64_u32 v[3:4], s[14:15], v4, 24, v[3:4]
	v_mov_b32_e32 v8, v3
	global_load_dwordx2 v[3:4], v[7:8], off glc
	s_waitcnt vmcnt(0)
	global_atomic_cmpswap_x2 v[8:9], v2, v[3:6], s[50:51] offset:24 glc
	s_waitcnt vmcnt(0)
	buffer_wbinvl1_vol
	v_cmp_eq_u64_e32 vcc, v[8:9], v[5:6]
	s_or_b64 s[12:13], vcc, s[12:13]
	s_andn2_b64 exec, exec, s[12:13]
	s_cbranch_execnz .LBB8_1562
; %bb.1563:
	s_or_b64 exec, exec, s[12:13]
.LBB8_1564:
	s_or_b64 exec, exec, s[10:11]
.LBB8_1565:
	s_or_b64 exec, exec, s[8:9]
	v_mov_b32_e32 v2, 0
	global_load_dwordx2 v[10:11], v2, s[50:51] offset:40
	global_load_dwordx4 v[4:7], v2, s[50:51]
	v_readfirstlane_b32 s8, v8
	v_readfirstlane_b32 s9, v9
	s_mov_b64 s[10:11], exec
	s_waitcnt vmcnt(1)
	v_readfirstlane_b32 s12, v10
	v_readfirstlane_b32 s13, v11
	s_and_b64 s[12:13], s[8:9], s[12:13]
	s_mul_i32 s14, s13, 24
	s_mul_hi_u32 s15, s12, 24
	s_mul_i32 s16, s12, 24
	s_add_i32 s14, s15, s14
	v_mov_b32_e32 v3, s14
	s_waitcnt vmcnt(0)
	v_add_co_u32_e32 v8, vcc, s16, v4
	v_addc_co_u32_e32 v9, vcc, v5, v3, vcc
	s_and_saveexec_b64 s[14:15], s[6:7]
	s_cbranch_execz .LBB8_1567
; %bb.1566:
	v_mov_b32_e32 v10, s10
	v_mov_b32_e32 v11, s11
	;; [unrolled: 1-line block ×4, first 2 shown]
	global_store_dwordx4 v[8:9], v[10:13], off offset:8
.LBB8_1567:
	s_or_b64 exec, exec, s[14:15]
	s_lshl_b64 s[10:11], s[12:13], 12
	v_mov_b32_e32 v3, s11
	v_add_co_u32_e32 v6, vcc, s10, v6
	v_addc_co_u32_e32 v7, vcc, v7, v3, vcc
	s_movk_i32 s10, 0xff1d
	v_and_or_b32 v0, v0, s10, 34
	s_mov_b32 s12, 0
	v_mov_b32_e32 v3, v2
	v_readfirstlane_b32 s10, v6
	v_readfirstlane_b32 s11, v7
	s_mov_b32 s13, s12
	s_mov_b32 s14, s12
	;; [unrolled: 1-line block ×3, first 2 shown]
	s_nop 1
	global_store_dwordx4 v42, v[0:3], s[10:11]
	s_nop 0
	v_mov_b32_e32 v0, s12
	v_mov_b32_e32 v1, s13
	;; [unrolled: 1-line block ×4, first 2 shown]
	global_store_dwordx4 v42, v[0:3], s[10:11] offset:16
	global_store_dwordx4 v42, v[0:3], s[10:11] offset:32
	;; [unrolled: 1-line block ×3, first 2 shown]
	s_and_saveexec_b64 s[10:11], s[6:7]
	s_cbranch_execz .LBB8_1575
; %bb.1568:
	v_mov_b32_e32 v6, 0
	global_load_dwordx2 v[12:13], v6, s[50:51] offset:32 glc
	global_load_dwordx2 v[0:1], v6, s[50:51] offset:40
	v_mov_b32_e32 v10, s8
	v_mov_b32_e32 v11, s9
	s_waitcnt vmcnt(0)
	v_readfirstlane_b32 s12, v0
	v_readfirstlane_b32 s13, v1
	s_and_b64 s[12:13], s[12:13], s[8:9]
	s_mul_i32 s13, s13, 24
	s_mul_hi_u32 s14, s12, 24
	s_mul_i32 s12, s12, 24
	s_add_i32 s13, s14, s13
	v_mov_b32_e32 v0, s13
	v_add_co_u32_e32 v4, vcc, s12, v4
	v_addc_co_u32_e32 v5, vcc, v5, v0, vcc
	global_store_dwordx2 v[4:5], v[12:13], off
	s_waitcnt vmcnt(0)
	global_atomic_cmpswap_x2 v[2:3], v6, v[10:13], s[50:51] offset:32 glc
	s_waitcnt vmcnt(0)
	v_cmp_ne_u64_e32 vcc, v[2:3], v[12:13]
	s_and_saveexec_b64 s[12:13], vcc
	s_cbranch_execz .LBB8_1571
; %bb.1569:
	s_mov_b64 s[14:15], 0
.LBB8_1570:                             ; =>This Inner Loop Header: Depth=1
	s_sleep 1
	global_store_dwordx2 v[4:5], v[2:3], off
	v_mov_b32_e32 v0, s8
	v_mov_b32_e32 v1, s9
	s_waitcnt vmcnt(0)
	global_atomic_cmpswap_x2 v[0:1], v6, v[0:3], s[50:51] offset:32 glc
	s_waitcnt vmcnt(0)
	v_cmp_eq_u64_e32 vcc, v[0:1], v[2:3]
	v_mov_b32_e32 v3, v1
	s_or_b64 s[14:15], vcc, s[14:15]
	v_mov_b32_e32 v2, v0
	s_andn2_b64 exec, exec, s[14:15]
	s_cbranch_execnz .LBB8_1570
.LBB8_1571:
	s_or_b64 exec, exec, s[12:13]
	v_mov_b32_e32 v3, 0
	global_load_dwordx2 v[0:1], v3, s[50:51] offset:16
	s_mov_b64 s[12:13], exec
	v_mbcnt_lo_u32_b32 v2, s12, 0
	v_mbcnt_hi_u32_b32 v2, s13, v2
	v_cmp_eq_u32_e32 vcc, 0, v2
	s_and_saveexec_b64 s[14:15], vcc
	s_cbranch_execz .LBB8_1573
; %bb.1572:
	s_bcnt1_i32_b64 s12, s[12:13]
	v_mov_b32_e32 v2, s12
	s_waitcnt vmcnt(0)
	global_atomic_add_x2 v[0:1], v[2:3], off offset:8
.LBB8_1573:
	s_or_b64 exec, exec, s[14:15]
	s_waitcnt vmcnt(0)
	global_load_dwordx2 v[2:3], v[0:1], off offset:16
	s_waitcnt vmcnt(0)
	v_cmp_eq_u64_e32 vcc, 0, v[2:3]
	s_cbranch_vccnz .LBB8_1575
; %bb.1574:
	global_load_dword v0, v[0:1], off offset:24
	v_mov_b32_e32 v1, 0
	s_waitcnt vmcnt(0)
	global_store_dwordx2 v[2:3], v[0:1], off
	v_and_b32_e32 v0, 0xffffff, v0
	v_readfirstlane_b32 m0, v0
	s_sendmsg sendmsg(MSG_INTERRUPT)
.LBB8_1575:
	s_or_b64 exec, exec, s[10:11]
	s_branch .LBB8_1579
.LBB8_1576:                             ;   in Loop: Header=BB8_1579 Depth=1
	s_or_b64 exec, exec, s[10:11]
	v_readfirstlane_b32 s10, v0
	s_cmp_eq_u32 s10, 0
	s_cbranch_scc1 .LBB8_1578
; %bb.1577:                             ;   in Loop: Header=BB8_1579 Depth=1
	s_sleep 1
	s_cbranch_execnz .LBB8_1579
	s_branch .LBB8_1581
.LBB8_1578:
	s_branch .LBB8_1581
.LBB8_1579:                             ; =>This Inner Loop Header: Depth=1
	v_mov_b32_e32 v0, 1
	s_and_saveexec_b64 s[10:11], s[6:7]
	s_cbranch_execz .LBB8_1576
; %bb.1580:                             ;   in Loop: Header=BB8_1579 Depth=1
	global_load_dword v0, v[8:9], off offset:20 glc
	s_waitcnt vmcnt(0)
	buffer_wbinvl1_vol
	v_and_b32_e32 v0, 1, v0
	s_branch .LBB8_1576
.LBB8_1581:
	s_and_saveexec_b64 s[10:11], s[6:7]
	s_cbranch_execz .LBB8_1584
; %bb.1582:
	v_mov_b32_e32 v6, 0
	global_load_dwordx2 v[2:3], v6, s[50:51] offset:40
	global_load_dwordx2 v[7:8], v6, s[50:51] offset:24 glc
	global_load_dwordx2 v[4:5], v6, s[50:51]
	v_mov_b32_e32 v1, s9
	s_mov_b64 s[6:7], 0
	s_waitcnt vmcnt(2)
	v_add_co_u32_e32 v9, vcc, 1, v2
	v_addc_co_u32_e32 v10, vcc, 0, v3, vcc
	v_add_co_u32_e32 v0, vcc, s8, v9
	v_addc_co_u32_e32 v1, vcc, v10, v1, vcc
	v_cmp_eq_u64_e32 vcc, 0, v[0:1]
	v_cndmask_b32_e32 v1, v1, v10, vcc
	v_cndmask_b32_e32 v0, v0, v9, vcc
	v_and_b32_e32 v3, v1, v3
	v_and_b32_e32 v2, v0, v2
	v_mul_lo_u32 v3, v3, 24
	v_mul_hi_u32 v9, v2, 24
	v_mul_lo_u32 v10, v2, 24
	s_waitcnt vmcnt(1)
	v_mov_b32_e32 v2, v7
	v_add_u32_e32 v3, v9, v3
	s_waitcnt vmcnt(0)
	v_add_co_u32_e32 v4, vcc, v4, v10
	v_addc_co_u32_e32 v5, vcc, v5, v3, vcc
	global_store_dwordx2 v[4:5], v[7:8], off
	v_mov_b32_e32 v3, v8
	s_waitcnt vmcnt(0)
	global_atomic_cmpswap_x2 v[2:3], v6, v[0:3], s[50:51] offset:24 glc
	s_waitcnt vmcnt(0)
	v_cmp_ne_u64_e32 vcc, v[2:3], v[7:8]
	s_and_b64 exec, exec, vcc
	s_cbranch_execz .LBB8_1584
.LBB8_1583:                             ; =>This Inner Loop Header: Depth=1
	s_sleep 1
	global_store_dwordx2 v[4:5], v[2:3], off
	s_waitcnt vmcnt(0)
	global_atomic_cmpswap_x2 v[7:8], v6, v[0:3], s[50:51] offset:24 glc
	s_waitcnt vmcnt(0)
	v_cmp_eq_u64_e32 vcc, v[7:8], v[2:3]
	v_mov_b32_e32 v2, v7
	s_or_b64 s[6:7], vcc, s[6:7]
	v_mov_b32_e32 v3, v8
	s_andn2_b64 exec, exec, s[6:7]
	s_cbranch_execnz .LBB8_1583
.LBB8_1584:
	s_or_b64 exec, exec, s[10:11]
.LBB8_1585:
	s_add_u32 s42, s4, 16
	s_addc_u32 s43, s5, 0
	s_mov_b64 s[56:57], s[4:5]
	s_getpc_b64 s[4:5]
	s_add_u32 s4, s4, .str@rel32@lo+4
	s_addc_u32 s5, s5, .str@rel32@hi+12
	s_mov_b64 s[8:9], s[42:43]
	s_waitcnt vmcnt(0)
	v_mov_b32_e32 v0, s4
	v_mov_b32_e32 v1, s5
	s_mov_b64 s[24:25], src_private_base
	s_getpc_b64 s[58:59]
	s_add_u32 s58, s58, _ZNK8migraphx13basic_printerIZNS_4coutEvEUlT_E_ElsEPKc@rel32@lo+4
	s_addc_u32 s59, s59, _ZNK8migraphx13basic_printerIZNS_4coutEvEUlT_E_ElsEPKc@rel32@hi+12
	s_swappc_b64 s[30:31], s[58:59]
	s_getpc_b64 s[4:5]
	s_add_u32 s4, s4, .str.3@rel32@lo+4
	s_addc_u32 s5, s5, .str.3@rel32@hi+12
	s_mov_b64 s[8:9], s[42:43]
	v_mov_b32_e32 v0, s4
	v_mov_b32_e32 v1, s5
	s_swappc_b64 s[30:31], s[58:59]
	s_mov_b64 s[8:9], s[42:43]
	v_mov_b32_e32 v0, 32
	v_mov_b32_e32 v1, s25
	s_getpc_b64 s[4:5]
	s_add_u32 s4, s4, _ZN8migraphx4testlsIKNS_13basic_printerIZNS_4coutEvEUlT_E_EEEERS3_S7_RKNS0_10expressionINS0_14lhs_expressionIRNS_5arrayIiLj4EEENS0_3nopEEESC_NS0_5equalEEE@rel32@lo+4
	s_addc_u32 s5, s5, _ZN8migraphx4testlsIKNS_13basic_printerIZNS_4coutEvEUlT_E_EEEERS3_S7_RKNS0_10expressionINS0_14lhs_expressionIRNS_5arrayIiLj4EEENS0_3nopEEESC_NS0_5equalEEE@rel32@hi+12
	s_swappc_b64 s[30:31], s[4:5]
	s_getpc_b64 s[4:5]
	s_add_u32 s4, s4, .str.4@rel32@lo+4
	s_addc_u32 s5, s5, .str.4@rel32@hi+12
	s_mov_b64 s[8:9], s[42:43]
	v_mov_b32_e32 v0, s4
	v_mov_b32_e32 v1, s5
	s_swappc_b64 s[30:31], s[58:59]
	v_readfirstlane_b32 s4, v43
	v_mov_b32_e32 v5, 0
	v_mov_b32_e32 v6, 0
	v_cmp_eq_u32_e64 s[6:7], s4, v43
	s_and_saveexec_b64 s[4:5], s[6:7]
	s_mov_b32 s10, s41
	s_cbranch_execz .LBB8_1591
; %bb.1586:
	v_mov_b32_e32 v0, 0
	global_load_dwordx2 v[3:4], v0, s[50:51] offset:24 glc
	s_waitcnt vmcnt(0)
	buffer_wbinvl1_vol
	global_load_dwordx2 v[1:2], v0, s[50:51] offset:40
	global_load_dwordx2 v[5:6], v0, s[50:51]
	s_waitcnt vmcnt(1)
	v_and_b32_e32 v1, v1, v3
	v_and_b32_e32 v2, v2, v4
	v_mul_lo_u32 v2, v2, 24
	v_mul_hi_u32 v7, v1, 24
	v_mul_lo_u32 v1, v1, 24
	v_add_u32_e32 v2, v7, v2
	s_waitcnt vmcnt(0)
	v_add_co_u32_e32 v1, vcc, v5, v1
	v_addc_co_u32_e32 v2, vcc, v6, v2, vcc
	global_load_dwordx2 v[1:2], v[1:2], off glc
	s_waitcnt vmcnt(0)
	global_atomic_cmpswap_x2 v[5:6], v0, v[1:4], s[50:51] offset:24 glc
	s_waitcnt vmcnt(0)
	buffer_wbinvl1_vol
	v_cmp_ne_u64_e32 vcc, v[5:6], v[3:4]
	s_and_saveexec_b64 s[8:9], vcc
	s_cbranch_execz .LBB8_1590
; %bb.1587:
	s_mov_b64 s[12:13], 0
.LBB8_1588:                             ; =>This Inner Loop Header: Depth=1
	s_sleep 1
	global_load_dwordx2 v[1:2], v0, s[50:51] offset:40
	global_load_dwordx2 v[7:8], v0, s[50:51]
	v_mov_b32_e32 v3, v5
	v_mov_b32_e32 v4, v6
	s_waitcnt vmcnt(1)
	v_and_b32_e32 v1, v1, v3
	s_waitcnt vmcnt(0)
	v_mad_u64_u32 v[5:6], s[14:15], v1, 24, v[7:8]
	v_and_b32_e32 v2, v2, v4
	v_mov_b32_e32 v1, v6
	v_mad_u64_u32 v[1:2], s[14:15], v2, 24, v[1:2]
	v_mov_b32_e32 v6, v1
	global_load_dwordx2 v[1:2], v[5:6], off glc
	s_waitcnt vmcnt(0)
	global_atomic_cmpswap_x2 v[5:6], v0, v[1:4], s[50:51] offset:24 glc
	s_waitcnt vmcnt(0)
	buffer_wbinvl1_vol
	v_cmp_eq_u64_e32 vcc, v[5:6], v[3:4]
	s_or_b64 s[12:13], vcc, s[12:13]
	s_andn2_b64 exec, exec, s[12:13]
	s_cbranch_execnz .LBB8_1588
; %bb.1589:
	s_or_b64 exec, exec, s[12:13]
.LBB8_1590:
	s_or_b64 exec, exec, s[8:9]
.LBB8_1591:
	s_or_b64 exec, exec, s[4:5]
	v_mov_b32_e32 v4, 0
	global_load_dwordx2 v[7:8], v4, s[50:51] offset:40
	global_load_dwordx4 v[0:3], v4, s[50:51]
	v_readfirstlane_b32 s8, v5
	v_readfirstlane_b32 s9, v6
	s_mov_b64 s[4:5], exec
	s_waitcnt vmcnt(1)
	v_readfirstlane_b32 s12, v7
	v_readfirstlane_b32 s13, v8
	s_and_b64 s[12:13], s[8:9], s[12:13]
	s_mul_i32 s11, s13, 24
	s_mul_hi_u32 s14, s12, 24
	s_mul_i32 s15, s12, 24
	s_add_i32 s11, s14, s11
	v_mov_b32_e32 v5, s11
	s_waitcnt vmcnt(0)
	v_add_co_u32_e32 v7, vcc, s15, v0
	v_addc_co_u32_e32 v8, vcc, v1, v5, vcc
	s_and_saveexec_b64 s[14:15], s[6:7]
	s_cbranch_execz .LBB8_1593
; %bb.1592:
	v_mov_b32_e32 v10, s5
	v_mov_b32_e32 v9, s4
	;; [unrolled: 1-line block ×4, first 2 shown]
	global_store_dwordx4 v[7:8], v[9:12], off offset:8
.LBB8_1593:
	s_or_b64 exec, exec, s[14:15]
	s_lshl_b64 s[4:5], s[12:13], 12
	v_mov_b32_e32 v5, s5
	v_add_co_u32_e32 v2, vcc, s4, v2
	v_addc_co_u32_e32 v11, vcc, v3, v5, vcc
	s_mov_b32 s12, 0
	v_mov_b32_e32 v3, 33
	v_mov_b32_e32 v5, v4
	;; [unrolled: 1-line block ×3, first 2 shown]
	v_readfirstlane_b32 s4, v2
	v_readfirstlane_b32 s5, v11
	v_add_co_u32_e32 v9, vcc, v2, v42
	s_mov_b32 s13, s12
	s_mov_b32 s14, s12
	;; [unrolled: 1-line block ×3, first 2 shown]
	s_nop 0
	global_store_dwordx4 v42, v[3:6], s[4:5]
	v_mov_b32_e32 v2, s12
	v_addc_co_u32_e32 v10, vcc, 0, v11, vcc
	v_mov_b32_e32 v3, s13
	v_mov_b32_e32 v4, s14
	;; [unrolled: 1-line block ×3, first 2 shown]
	global_store_dwordx4 v42, v[2:5], s[4:5] offset:16
	global_store_dwordx4 v42, v[2:5], s[4:5] offset:32
	;; [unrolled: 1-line block ×3, first 2 shown]
	s_and_saveexec_b64 s[12:13], s[6:7]
	s_mov_b64 s[4:5], s[56:57]
	s_cbranch_execz .LBB8_1601
; %bb.1594:
	v_mov_b32_e32 v6, 0
	global_load_dwordx2 v[13:14], v6, s[50:51] offset:32 glc
	global_load_dwordx2 v[2:3], v6, s[50:51] offset:40
	v_mov_b32_e32 v11, s8
	v_mov_b32_e32 v12, s9
	s_waitcnt vmcnt(0)
	v_readfirstlane_b32 s14, v2
	v_readfirstlane_b32 s15, v3
	s_and_b64 s[14:15], s[14:15], s[8:9]
	s_mul_i32 s11, s15, 24
	s_mul_hi_u32 s15, s14, 24
	s_mul_i32 s14, s14, 24
	s_add_i32 s11, s15, s11
	v_mov_b32_e32 v2, s11
	v_add_co_u32_e32 v4, vcc, s14, v0
	v_addc_co_u32_e32 v5, vcc, v1, v2, vcc
	global_store_dwordx2 v[4:5], v[13:14], off
	s_waitcnt vmcnt(0)
	global_atomic_cmpswap_x2 v[2:3], v6, v[11:14], s[50:51] offset:32 glc
	s_waitcnt vmcnt(0)
	v_cmp_ne_u64_e32 vcc, v[2:3], v[13:14]
	s_and_saveexec_b64 s[14:15], vcc
	s_cbranch_execz .LBB8_1597
; %bb.1595:
	s_mov_b64 s[16:17], 0
.LBB8_1596:                             ; =>This Inner Loop Header: Depth=1
	s_sleep 1
	global_store_dwordx2 v[4:5], v[2:3], off
	v_mov_b32_e32 v0, s8
	v_mov_b32_e32 v1, s9
	s_waitcnt vmcnt(0)
	global_atomic_cmpswap_x2 v[0:1], v6, v[0:3], s[50:51] offset:32 glc
	s_waitcnt vmcnt(0)
	v_cmp_eq_u64_e32 vcc, v[0:1], v[2:3]
	v_mov_b32_e32 v3, v1
	s_or_b64 s[16:17], vcc, s[16:17]
	v_mov_b32_e32 v2, v0
	s_andn2_b64 exec, exec, s[16:17]
	s_cbranch_execnz .LBB8_1596
.LBB8_1597:
	s_or_b64 exec, exec, s[14:15]
	v_mov_b32_e32 v3, 0
	global_load_dwordx2 v[0:1], v3, s[50:51] offset:16
	s_mov_b64 s[14:15], exec
	v_mbcnt_lo_u32_b32 v2, s14, 0
	v_mbcnt_hi_u32_b32 v2, s15, v2
	v_cmp_eq_u32_e32 vcc, 0, v2
	s_and_saveexec_b64 s[16:17], vcc
	s_cbranch_execz .LBB8_1599
; %bb.1598:
	s_bcnt1_i32_b64 s11, s[14:15]
	v_mov_b32_e32 v2, s11
	s_waitcnt vmcnt(0)
	global_atomic_add_x2 v[0:1], v[2:3], off offset:8
.LBB8_1599:
	s_or_b64 exec, exec, s[16:17]
	s_waitcnt vmcnt(0)
	global_load_dwordx2 v[2:3], v[0:1], off offset:16
	s_waitcnt vmcnt(0)
	v_cmp_eq_u64_e32 vcc, 0, v[2:3]
	s_cbranch_vccnz .LBB8_1601
; %bb.1600:
	global_load_dword v0, v[0:1], off offset:24
	v_mov_b32_e32 v1, 0
	s_waitcnt vmcnt(0)
	global_store_dwordx2 v[2:3], v[0:1], off
	v_and_b32_e32 v0, 0xffffff, v0
	v_readfirstlane_b32 m0, v0
	s_sendmsg sendmsg(MSG_INTERRUPT)
.LBB8_1601:
	s_or_b64 exec, exec, s[12:13]
	s_branch .LBB8_1605
.LBB8_1602:                             ;   in Loop: Header=BB8_1605 Depth=1
	s_or_b64 exec, exec, s[12:13]
	v_readfirstlane_b32 s11, v0
	s_cmp_eq_u32 s11, 0
	s_cbranch_scc1 .LBB8_1604
; %bb.1603:                             ;   in Loop: Header=BB8_1605 Depth=1
	s_sleep 1
	s_cbranch_execnz .LBB8_1605
	s_branch .LBB8_1607
.LBB8_1604:
	s_branch .LBB8_1607
.LBB8_1605:                             ; =>This Inner Loop Header: Depth=1
	v_mov_b32_e32 v0, 1
	s_and_saveexec_b64 s[12:13], s[6:7]
	s_cbranch_execz .LBB8_1602
; %bb.1606:                             ;   in Loop: Header=BB8_1605 Depth=1
	global_load_dword v0, v[7:8], off offset:20 glc
	s_waitcnt vmcnt(0)
	buffer_wbinvl1_vol
	v_and_b32_e32 v0, 1, v0
	s_branch .LBB8_1602
.LBB8_1607:
	global_load_dwordx2 v[0:1], v[9:10], off
	s_and_saveexec_b64 s[12:13], s[6:7]
	s_cbranch_execz .LBB8_1610
; %bb.1608:
	v_mov_b32_e32 v8, 0
	global_load_dwordx2 v[4:5], v8, s[50:51] offset:40
	global_load_dwordx2 v[9:10], v8, s[50:51] offset:24 glc
	global_load_dwordx2 v[6:7], v8, s[50:51]
	v_mov_b32_e32 v3, s9
	s_mov_b64 s[6:7], 0
	s_waitcnt vmcnt(2)
	v_add_co_u32_e32 v11, vcc, 1, v4
	v_addc_co_u32_e32 v12, vcc, 0, v5, vcc
	v_add_co_u32_e32 v2, vcc, s8, v11
	v_addc_co_u32_e32 v3, vcc, v12, v3, vcc
	v_cmp_eq_u64_e32 vcc, 0, v[2:3]
	v_cndmask_b32_e32 v3, v3, v12, vcc
	v_cndmask_b32_e32 v2, v2, v11, vcc
	v_and_b32_e32 v5, v3, v5
	v_and_b32_e32 v4, v2, v4
	v_mul_lo_u32 v5, v5, 24
	v_mul_hi_u32 v11, v4, 24
	v_mul_lo_u32 v12, v4, 24
	s_waitcnt vmcnt(1)
	v_mov_b32_e32 v4, v9
	v_add_u32_e32 v5, v11, v5
	s_waitcnt vmcnt(0)
	v_add_co_u32_e32 v6, vcc, v6, v12
	v_addc_co_u32_e32 v7, vcc, v7, v5, vcc
	global_store_dwordx2 v[6:7], v[9:10], off
	v_mov_b32_e32 v5, v10
	s_waitcnt vmcnt(0)
	global_atomic_cmpswap_x2 v[4:5], v8, v[2:5], s[50:51] offset:24 glc
	s_waitcnt vmcnt(0)
	v_cmp_ne_u64_e32 vcc, v[4:5], v[9:10]
	s_and_b64 exec, exec, vcc
	s_cbranch_execz .LBB8_1610
.LBB8_1609:                             ; =>This Inner Loop Header: Depth=1
	s_sleep 1
	global_store_dwordx2 v[6:7], v[4:5], off
	s_waitcnt vmcnt(0)
	global_atomic_cmpswap_x2 v[9:10], v8, v[2:5], s[50:51] offset:24 glc
	s_waitcnt vmcnt(0)
	v_cmp_eq_u64_e32 vcc, v[9:10], v[4:5]
	v_mov_b32_e32 v4, v9
	s_or_b64 s[6:7], vcc, s[6:7]
	v_mov_b32_e32 v5, v10
	s_andn2_b64 exec, exec, s[6:7]
	s_cbranch_execnz .LBB8_1609
.LBB8_1610:
	s_or_b64 exec, exec, s[12:13]
	s_and_b64 vcc, exec, s[54:55]
	s_cbranch_vccz .LBB8_1695
; %bb.1611:
	s_waitcnt vmcnt(0)
	v_and_b32_e32 v31, 2, v0
	v_mov_b32_e32 v28, 0
	v_and_b32_e32 v2, -3, v0
	v_mov_b32_e32 v3, v1
	s_mov_b64 s[12:13], 3
	v_mov_b32_e32 v6, 2
	v_mov_b32_e32 v7, 1
	s_getpc_b64 s[8:9]
	s_add_u32 s8, s8, .str.6@rel32@lo+4
	s_addc_u32 s9, s9, .str.6@rel32@hi+12
	s_branch .LBB8_1613
.LBB8_1612:                             ;   in Loop: Header=BB8_1613 Depth=1
	s_or_b64 exec, exec, s[18:19]
	s_sub_u32 s12, s12, s14
	s_subb_u32 s13, s13, s15
	s_add_u32 s8, s8, s14
	s_addc_u32 s9, s9, s15
	s_cmp_lg_u64 s[12:13], 0
	s_cbranch_scc0 .LBB8_1694
.LBB8_1613:                             ; =>This Loop Header: Depth=1
                                        ;     Child Loop BB8_1616 Depth 2
                                        ;     Child Loop BB8_1623 Depth 2
	;; [unrolled: 1-line block ×11, first 2 shown]
	v_cmp_lt_u64_e64 s[6:7], s[12:13], 56
	v_cmp_gt_u64_e64 s[16:17], s[12:13], 7
	s_and_b64 s[6:7], s[6:7], exec
	s_cselect_b32 s15, s13, 0
	s_cselect_b32 s14, s12, 56
	s_and_b64 vcc, exec, s[16:17]
	s_cbranch_vccnz .LBB8_1618
; %bb.1614:                             ;   in Loop: Header=BB8_1613 Depth=1
	v_mov_b32_e32 v10, 0
	s_cmp_eq_u64 s[12:13], 0
	v_mov_b32_e32 v11, 0
	s_mov_b64 s[6:7], 0
	s_cbranch_scc1 .LBB8_1617
; %bb.1615:                             ;   in Loop: Header=BB8_1613 Depth=1
	v_mov_b32_e32 v10, 0
	s_lshl_b64 s[16:17], s[14:15], 3
	s_mov_b64 s[18:19], 0
	v_mov_b32_e32 v11, 0
	s_mov_b64 s[20:21], s[8:9]
.LBB8_1616:                             ;   Parent Loop BB8_1613 Depth=1
                                        ; =>  This Inner Loop Header: Depth=2
	global_load_ubyte v4, v28, s[20:21]
	s_waitcnt vmcnt(0)
	v_and_b32_e32 v27, 0xffff, v4
	v_lshlrev_b64 v[4:5], s18, v[27:28]
	s_add_u32 s18, s18, 8
	s_addc_u32 s19, s19, 0
	s_add_u32 s20, s20, 1
	s_addc_u32 s21, s21, 0
	v_or_b32_e32 v10, v4, v10
	s_cmp_lg_u32 s16, s18
	v_or_b32_e32 v11, v5, v11
	s_cbranch_scc1 .LBB8_1616
.LBB8_1617:                             ;   in Loop: Header=BB8_1613 Depth=1
	s_mov_b32 s11, 0
	s_andn2_b64 vcc, exec, s[6:7]
	s_mov_b64 s[6:7], s[8:9]
	s_cbranch_vccz .LBB8_1619
	s_branch .LBB8_1620
.LBB8_1618:                             ;   in Loop: Header=BB8_1613 Depth=1
                                        ; implicit-def: $vgpr10_vgpr11
                                        ; implicit-def: $sgpr11
	s_mov_b64 s[6:7], s[8:9]
.LBB8_1619:                             ;   in Loop: Header=BB8_1613 Depth=1
	global_load_dwordx2 v[10:11], v28, s[8:9]
	s_add_i32 s11, s14, -8
	s_add_u32 s6, s8, 8
	s_addc_u32 s7, s9, 0
.LBB8_1620:                             ;   in Loop: Header=BB8_1613 Depth=1
	s_cmp_gt_u32 s11, 7
	s_cbranch_scc1 .LBB8_1624
; %bb.1621:                             ;   in Loop: Header=BB8_1613 Depth=1
	s_cmp_eq_u32 s11, 0
	s_cbranch_scc1 .LBB8_1625
; %bb.1622:                             ;   in Loop: Header=BB8_1613 Depth=1
	v_mov_b32_e32 v12, 0
	s_mov_b64 s[16:17], 0
	v_mov_b32_e32 v13, 0
	s_mov_b64 s[18:19], 0
.LBB8_1623:                             ;   Parent Loop BB8_1613 Depth=1
                                        ; =>  This Inner Loop Header: Depth=2
	s_add_u32 s20, s6, s18
	s_addc_u32 s21, s7, s19
	global_load_ubyte v4, v28, s[20:21]
	s_add_u32 s18, s18, 1
	s_addc_u32 s19, s19, 0
	s_waitcnt vmcnt(0)
	v_and_b32_e32 v27, 0xffff, v4
	v_lshlrev_b64 v[4:5], s16, v[27:28]
	s_add_u32 s16, s16, 8
	s_addc_u32 s17, s17, 0
	v_or_b32_e32 v12, v4, v12
	s_cmp_lg_u32 s11, s18
	v_or_b32_e32 v13, v5, v13
	s_cbranch_scc1 .LBB8_1623
	s_branch .LBB8_1626
.LBB8_1624:                             ;   in Loop: Header=BB8_1613 Depth=1
                                        ; implicit-def: $vgpr12_vgpr13
                                        ; implicit-def: $sgpr20
	s_branch .LBB8_1627
.LBB8_1625:                             ;   in Loop: Header=BB8_1613 Depth=1
	v_mov_b32_e32 v12, 0
	v_mov_b32_e32 v13, 0
.LBB8_1626:                             ;   in Loop: Header=BB8_1613 Depth=1
	s_mov_b32 s20, 0
	s_cbranch_execnz .LBB8_1628
.LBB8_1627:                             ;   in Loop: Header=BB8_1613 Depth=1
	global_load_dwordx2 v[12:13], v28, s[6:7]
	s_add_i32 s20, s11, -8
	s_add_u32 s6, s6, 8
	s_addc_u32 s7, s7, 0
.LBB8_1628:                             ;   in Loop: Header=BB8_1613 Depth=1
	s_cmp_gt_u32 s20, 7
	s_cbranch_scc1 .LBB8_1632
; %bb.1629:                             ;   in Loop: Header=BB8_1613 Depth=1
	s_cmp_eq_u32 s20, 0
	s_cbranch_scc1 .LBB8_1633
; %bb.1630:                             ;   in Loop: Header=BB8_1613 Depth=1
	v_mov_b32_e32 v14, 0
	s_mov_b64 s[16:17], 0
	v_mov_b32_e32 v15, 0
	s_mov_b64 s[18:19], 0
.LBB8_1631:                             ;   Parent Loop BB8_1613 Depth=1
                                        ; =>  This Inner Loop Header: Depth=2
	s_add_u32 s22, s6, s18
	s_addc_u32 s23, s7, s19
	global_load_ubyte v4, v28, s[22:23]
	s_add_u32 s18, s18, 1
	s_addc_u32 s19, s19, 0
	s_waitcnt vmcnt(0)
	v_and_b32_e32 v27, 0xffff, v4
	v_lshlrev_b64 v[4:5], s16, v[27:28]
	s_add_u32 s16, s16, 8
	s_addc_u32 s17, s17, 0
	v_or_b32_e32 v14, v4, v14
	s_cmp_lg_u32 s20, s18
	v_or_b32_e32 v15, v5, v15
	s_cbranch_scc1 .LBB8_1631
	s_branch .LBB8_1634
.LBB8_1632:                             ;   in Loop: Header=BB8_1613 Depth=1
                                        ; implicit-def: $sgpr11
	s_branch .LBB8_1635
.LBB8_1633:                             ;   in Loop: Header=BB8_1613 Depth=1
	v_mov_b32_e32 v14, 0
	v_mov_b32_e32 v15, 0
.LBB8_1634:                             ;   in Loop: Header=BB8_1613 Depth=1
	s_mov_b32 s11, 0
	s_cbranch_execnz .LBB8_1636
.LBB8_1635:                             ;   in Loop: Header=BB8_1613 Depth=1
	global_load_dwordx2 v[14:15], v28, s[6:7]
	s_add_i32 s11, s20, -8
	s_add_u32 s6, s6, 8
	s_addc_u32 s7, s7, 0
.LBB8_1636:                             ;   in Loop: Header=BB8_1613 Depth=1
	s_cmp_gt_u32 s11, 7
	s_cbranch_scc1 .LBB8_1640
; %bb.1637:                             ;   in Loop: Header=BB8_1613 Depth=1
	s_cmp_eq_u32 s11, 0
	s_cbranch_scc1 .LBB8_1641
; %bb.1638:                             ;   in Loop: Header=BB8_1613 Depth=1
	v_mov_b32_e32 v16, 0
	s_mov_b64 s[16:17], 0
	v_mov_b32_e32 v17, 0
	s_mov_b64 s[18:19], 0
.LBB8_1639:                             ;   Parent Loop BB8_1613 Depth=1
                                        ; =>  This Inner Loop Header: Depth=2
	s_add_u32 s20, s6, s18
	s_addc_u32 s21, s7, s19
	global_load_ubyte v4, v28, s[20:21]
	s_add_u32 s18, s18, 1
	s_addc_u32 s19, s19, 0
	s_waitcnt vmcnt(0)
	v_and_b32_e32 v27, 0xffff, v4
	v_lshlrev_b64 v[4:5], s16, v[27:28]
	s_add_u32 s16, s16, 8
	s_addc_u32 s17, s17, 0
	v_or_b32_e32 v16, v4, v16
	s_cmp_lg_u32 s11, s18
	v_or_b32_e32 v17, v5, v17
	s_cbranch_scc1 .LBB8_1639
	s_branch .LBB8_1642
.LBB8_1640:                             ;   in Loop: Header=BB8_1613 Depth=1
                                        ; implicit-def: $vgpr16_vgpr17
                                        ; implicit-def: $sgpr20
	s_branch .LBB8_1643
.LBB8_1641:                             ;   in Loop: Header=BB8_1613 Depth=1
	v_mov_b32_e32 v16, 0
	v_mov_b32_e32 v17, 0
.LBB8_1642:                             ;   in Loop: Header=BB8_1613 Depth=1
	s_mov_b32 s20, 0
	s_cbranch_execnz .LBB8_1644
.LBB8_1643:                             ;   in Loop: Header=BB8_1613 Depth=1
	global_load_dwordx2 v[16:17], v28, s[6:7]
	s_add_i32 s20, s11, -8
	s_add_u32 s6, s6, 8
	s_addc_u32 s7, s7, 0
.LBB8_1644:                             ;   in Loop: Header=BB8_1613 Depth=1
	s_cmp_gt_u32 s20, 7
	s_cbranch_scc1 .LBB8_1648
; %bb.1645:                             ;   in Loop: Header=BB8_1613 Depth=1
	s_cmp_eq_u32 s20, 0
	s_cbranch_scc1 .LBB8_1649
; %bb.1646:                             ;   in Loop: Header=BB8_1613 Depth=1
	v_mov_b32_e32 v18, 0
	s_mov_b64 s[16:17], 0
	v_mov_b32_e32 v19, 0
	s_mov_b64 s[18:19], 0
.LBB8_1647:                             ;   Parent Loop BB8_1613 Depth=1
                                        ; =>  This Inner Loop Header: Depth=2
	s_add_u32 s22, s6, s18
	s_addc_u32 s23, s7, s19
	global_load_ubyte v4, v28, s[22:23]
	s_add_u32 s18, s18, 1
	s_addc_u32 s19, s19, 0
	s_waitcnt vmcnt(0)
	v_and_b32_e32 v27, 0xffff, v4
	v_lshlrev_b64 v[4:5], s16, v[27:28]
	s_add_u32 s16, s16, 8
	s_addc_u32 s17, s17, 0
	v_or_b32_e32 v18, v4, v18
	s_cmp_lg_u32 s20, s18
	v_or_b32_e32 v19, v5, v19
	s_cbranch_scc1 .LBB8_1647
	s_branch .LBB8_1650
.LBB8_1648:                             ;   in Loop: Header=BB8_1613 Depth=1
                                        ; implicit-def: $sgpr11
	s_branch .LBB8_1651
.LBB8_1649:                             ;   in Loop: Header=BB8_1613 Depth=1
	v_mov_b32_e32 v18, 0
	v_mov_b32_e32 v19, 0
.LBB8_1650:                             ;   in Loop: Header=BB8_1613 Depth=1
	s_mov_b32 s11, 0
	s_cbranch_execnz .LBB8_1652
.LBB8_1651:                             ;   in Loop: Header=BB8_1613 Depth=1
	global_load_dwordx2 v[18:19], v28, s[6:7]
	s_add_i32 s11, s20, -8
	s_add_u32 s6, s6, 8
	s_addc_u32 s7, s7, 0
.LBB8_1652:                             ;   in Loop: Header=BB8_1613 Depth=1
	s_cmp_gt_u32 s11, 7
	s_cbranch_scc1 .LBB8_1656
; %bb.1653:                             ;   in Loop: Header=BB8_1613 Depth=1
	s_cmp_eq_u32 s11, 0
	s_cbranch_scc1 .LBB8_1657
; %bb.1654:                             ;   in Loop: Header=BB8_1613 Depth=1
	v_mov_b32_e32 v20, 0
	s_mov_b64 s[16:17], 0
	v_mov_b32_e32 v21, 0
	s_mov_b64 s[18:19], 0
.LBB8_1655:                             ;   Parent Loop BB8_1613 Depth=1
                                        ; =>  This Inner Loop Header: Depth=2
	s_add_u32 s20, s6, s18
	s_addc_u32 s21, s7, s19
	global_load_ubyte v4, v28, s[20:21]
	s_add_u32 s18, s18, 1
	s_addc_u32 s19, s19, 0
	s_waitcnt vmcnt(0)
	v_and_b32_e32 v27, 0xffff, v4
	v_lshlrev_b64 v[4:5], s16, v[27:28]
	s_add_u32 s16, s16, 8
	s_addc_u32 s17, s17, 0
	v_or_b32_e32 v20, v4, v20
	s_cmp_lg_u32 s11, s18
	v_or_b32_e32 v21, v5, v21
	s_cbranch_scc1 .LBB8_1655
	s_branch .LBB8_1658
.LBB8_1656:                             ;   in Loop: Header=BB8_1613 Depth=1
                                        ; implicit-def: $vgpr20_vgpr21
                                        ; implicit-def: $sgpr20
	s_branch .LBB8_1659
.LBB8_1657:                             ;   in Loop: Header=BB8_1613 Depth=1
	v_mov_b32_e32 v20, 0
	v_mov_b32_e32 v21, 0
.LBB8_1658:                             ;   in Loop: Header=BB8_1613 Depth=1
	s_mov_b32 s20, 0
	s_cbranch_execnz .LBB8_1660
.LBB8_1659:                             ;   in Loop: Header=BB8_1613 Depth=1
	global_load_dwordx2 v[20:21], v28, s[6:7]
	s_add_i32 s20, s11, -8
	s_add_u32 s6, s6, 8
	s_addc_u32 s7, s7, 0
.LBB8_1660:                             ;   in Loop: Header=BB8_1613 Depth=1
	s_cmp_gt_u32 s20, 7
	s_cbranch_scc1 .LBB8_1664
; %bb.1661:                             ;   in Loop: Header=BB8_1613 Depth=1
	s_cmp_eq_u32 s20, 0
	s_cbranch_scc1 .LBB8_1665
; %bb.1662:                             ;   in Loop: Header=BB8_1613 Depth=1
	v_mov_b32_e32 v22, 0
	s_mov_b64 s[16:17], 0
	v_mov_b32_e32 v23, 0
	s_mov_b64 s[18:19], s[6:7]
.LBB8_1663:                             ;   Parent Loop BB8_1613 Depth=1
                                        ; =>  This Inner Loop Header: Depth=2
	global_load_ubyte v4, v28, s[18:19]
	s_add_i32 s20, s20, -1
	s_waitcnt vmcnt(0)
	v_and_b32_e32 v27, 0xffff, v4
	v_lshlrev_b64 v[4:5], s16, v[27:28]
	s_add_u32 s16, s16, 8
	s_addc_u32 s17, s17, 0
	s_add_u32 s18, s18, 1
	s_addc_u32 s19, s19, 0
	v_or_b32_e32 v22, v4, v22
	s_cmp_lg_u32 s20, 0
	v_or_b32_e32 v23, v5, v23
	s_cbranch_scc1 .LBB8_1663
	s_branch .LBB8_1666
.LBB8_1664:                             ;   in Loop: Header=BB8_1613 Depth=1
	s_branch .LBB8_1667
.LBB8_1665:                             ;   in Loop: Header=BB8_1613 Depth=1
	v_mov_b32_e32 v22, 0
	v_mov_b32_e32 v23, 0
.LBB8_1666:                             ;   in Loop: Header=BB8_1613 Depth=1
	s_cbranch_execnz .LBB8_1668
.LBB8_1667:                             ;   in Loop: Header=BB8_1613 Depth=1
	global_load_dwordx2 v[22:23], v28, s[6:7]
.LBB8_1668:                             ;   in Loop: Header=BB8_1613 Depth=1
	v_readfirstlane_b32 s6, v43
	s_waitcnt vmcnt(0)
	v_mov_b32_e32 v4, 0
	v_mov_b32_e32 v5, 0
	v_cmp_eq_u32_e64 s[6:7], s6, v43
	s_and_saveexec_b64 s[16:17], s[6:7]
	s_cbranch_execz .LBB8_1674
; %bb.1669:                             ;   in Loop: Header=BB8_1613 Depth=1
	global_load_dwordx2 v[26:27], v28, s[50:51] offset:24 glc
	s_waitcnt vmcnt(0)
	buffer_wbinvl1_vol
	global_load_dwordx2 v[4:5], v28, s[50:51] offset:40
	global_load_dwordx2 v[8:9], v28, s[50:51]
	s_waitcnt vmcnt(1)
	v_and_b32_e32 v4, v4, v26
	v_and_b32_e32 v5, v5, v27
	v_mul_lo_u32 v5, v5, 24
	v_mul_hi_u32 v24, v4, 24
	v_mul_lo_u32 v4, v4, 24
	v_add_u32_e32 v5, v24, v5
	s_waitcnt vmcnt(0)
	v_add_co_u32_e32 v4, vcc, v8, v4
	v_addc_co_u32_e32 v5, vcc, v9, v5, vcc
	global_load_dwordx2 v[24:25], v[4:5], off glc
	s_waitcnt vmcnt(0)
	global_atomic_cmpswap_x2 v[4:5], v28, v[24:27], s[50:51] offset:24 glc
	s_waitcnt vmcnt(0)
	buffer_wbinvl1_vol
	v_cmp_ne_u64_e32 vcc, v[4:5], v[26:27]
	s_and_saveexec_b64 s[18:19], vcc
	s_cbranch_execz .LBB8_1673
; %bb.1670:                             ;   in Loop: Header=BB8_1613 Depth=1
	s_mov_b64 s[20:21], 0
.LBB8_1671:                             ;   Parent Loop BB8_1613 Depth=1
                                        ; =>  This Inner Loop Header: Depth=2
	s_sleep 1
	global_load_dwordx2 v[8:9], v28, s[50:51] offset:40
	global_load_dwordx2 v[24:25], v28, s[50:51]
	v_mov_b32_e32 v27, v5
	v_mov_b32_e32 v26, v4
	s_waitcnt vmcnt(1)
	v_and_b32_e32 v4, v8, v26
	s_waitcnt vmcnt(0)
	v_mad_u64_u32 v[4:5], s[22:23], v4, 24, v[24:25]
	v_and_b32_e32 v8, v9, v27
	v_mad_u64_u32 v[8:9], s[22:23], v8, 24, v[5:6]
	v_mov_b32_e32 v5, v8
	global_load_dwordx2 v[24:25], v[4:5], off glc
	s_waitcnt vmcnt(0)
	global_atomic_cmpswap_x2 v[4:5], v28, v[24:27], s[50:51] offset:24 glc
	s_waitcnt vmcnt(0)
	buffer_wbinvl1_vol
	v_cmp_eq_u64_e32 vcc, v[4:5], v[26:27]
	s_or_b64 s[20:21], vcc, s[20:21]
	s_andn2_b64 exec, exec, s[20:21]
	s_cbranch_execnz .LBB8_1671
; %bb.1672:                             ;   in Loop: Header=BB8_1613 Depth=1
	s_or_b64 exec, exec, s[20:21]
.LBB8_1673:                             ;   in Loop: Header=BB8_1613 Depth=1
	s_or_b64 exec, exec, s[18:19]
.LBB8_1674:                             ;   in Loop: Header=BB8_1613 Depth=1
	s_or_b64 exec, exec, s[16:17]
	global_load_dwordx2 v[8:9], v28, s[50:51] offset:40
	global_load_dwordx4 v[24:27], v28, s[50:51]
	v_readfirstlane_b32 s16, v4
	v_readfirstlane_b32 s17, v5
	s_mov_b64 s[20:21], exec
	s_waitcnt vmcnt(1)
	v_readfirstlane_b32 s18, v8
	v_readfirstlane_b32 s19, v9
	s_and_b64 s[18:19], s[16:17], s[18:19]
	s_mul_i32 s11, s19, 24
	s_mul_hi_u32 s22, s18, 24
	s_mul_i32 s23, s18, 24
	s_add_i32 s11, s22, s11
	v_mov_b32_e32 v4, s11
	s_waitcnt vmcnt(0)
	v_add_co_u32_e32 v29, vcc, s23, v24
	v_addc_co_u32_e32 v30, vcc, v25, v4, vcc
	s_and_saveexec_b64 s[22:23], s[6:7]
	s_cbranch_execz .LBB8_1676
; %bb.1675:                             ;   in Loop: Header=BB8_1613 Depth=1
	v_mov_b32_e32 v4, s20
	v_mov_b32_e32 v5, s21
	global_store_dwordx4 v[29:30], v[4:7], off offset:8
.LBB8_1676:                             ;   in Loop: Header=BB8_1613 Depth=1
	s_or_b64 exec, exec, s[22:23]
	v_cmp_gt_u64_e64 vcc, s[12:13], 56
	v_or_b32_e32 v4, 0, v3
	v_cndmask_b32_e32 v9, v4, v3, vcc
	v_or_b32_e32 v3, v2, v31
	s_lshl_b32 s11, s14, 2
	v_cndmask_b32_e32 v2, v3, v2, vcc
	s_add_i32 s11, s11, 28
	s_and_b32 s11, s11, 0x1e0
	v_and_b32_e32 v2, 0xffffff1f, v2
	s_lshl_b64 s[18:19], s[18:19], 12
	v_or_b32_e32 v8, s11, v2
	v_mov_b32_e32 v2, s19
	v_add_co_u32_e32 v26, vcc, s18, v26
	v_addc_co_u32_e32 v32, vcc, v27, v2, vcc
	v_readfirstlane_b32 s18, v26
	v_readfirstlane_b32 s19, v32
	s_nop 4
	global_store_dwordx4 v42, v[8:11], s[18:19]
	global_store_dwordx4 v42, v[12:15], s[18:19] offset:16
	global_store_dwordx4 v42, v[16:19], s[18:19] offset:32
	;; [unrolled: 1-line block ×3, first 2 shown]
	s_and_saveexec_b64 s[18:19], s[6:7]
	s_cbranch_execz .LBB8_1684
; %bb.1677:                             ;   in Loop: Header=BB8_1613 Depth=1
	global_load_dwordx2 v[12:13], v28, s[50:51] offset:32 glc
	global_load_dwordx2 v[2:3], v28, s[50:51] offset:40
	v_mov_b32_e32 v10, s16
	v_mov_b32_e32 v11, s17
	s_waitcnt vmcnt(0)
	v_readfirstlane_b32 s20, v2
	v_readfirstlane_b32 s21, v3
	s_and_b64 s[20:21], s[20:21], s[16:17]
	s_mul_i32 s11, s21, 24
	s_mul_hi_u32 s21, s20, 24
	s_mul_i32 s20, s20, 24
	s_add_i32 s11, s21, s11
	v_mov_b32_e32 v2, s11
	v_add_co_u32_e32 v8, vcc, s20, v24
	v_addc_co_u32_e32 v9, vcc, v25, v2, vcc
	global_store_dwordx2 v[8:9], v[12:13], off
	s_waitcnt vmcnt(0)
	global_atomic_cmpswap_x2 v[4:5], v28, v[10:13], s[50:51] offset:32 glc
	s_waitcnt vmcnt(0)
	v_cmp_ne_u64_e32 vcc, v[4:5], v[12:13]
	s_and_saveexec_b64 s[20:21], vcc
	s_cbranch_execz .LBB8_1680
; %bb.1678:                             ;   in Loop: Header=BB8_1613 Depth=1
	s_mov_b64 s[22:23], 0
.LBB8_1679:                             ;   Parent Loop BB8_1613 Depth=1
                                        ; =>  This Inner Loop Header: Depth=2
	s_sleep 1
	global_store_dwordx2 v[8:9], v[4:5], off
	v_mov_b32_e32 v2, s16
	v_mov_b32_e32 v3, s17
	s_waitcnt vmcnt(0)
	global_atomic_cmpswap_x2 v[2:3], v28, v[2:5], s[50:51] offset:32 glc
	s_waitcnt vmcnt(0)
	v_cmp_eq_u64_e32 vcc, v[2:3], v[4:5]
	v_mov_b32_e32 v5, v3
	s_or_b64 s[22:23], vcc, s[22:23]
	v_mov_b32_e32 v4, v2
	s_andn2_b64 exec, exec, s[22:23]
	s_cbranch_execnz .LBB8_1679
.LBB8_1680:                             ;   in Loop: Header=BB8_1613 Depth=1
	s_or_b64 exec, exec, s[20:21]
	global_load_dwordx2 v[2:3], v28, s[50:51] offset:16
	s_mov_b64 s[22:23], exec
	v_mbcnt_lo_u32_b32 v4, s22, 0
	v_mbcnt_hi_u32_b32 v4, s23, v4
	v_cmp_eq_u32_e32 vcc, 0, v4
	s_and_saveexec_b64 s[20:21], vcc
	s_cbranch_execz .LBB8_1682
; %bb.1681:                             ;   in Loop: Header=BB8_1613 Depth=1
	s_bcnt1_i32_b64 s11, s[22:23]
	v_mov_b32_e32 v27, s11
	s_waitcnt vmcnt(0)
	global_atomic_add_x2 v[2:3], v[27:28], off offset:8
.LBB8_1682:                             ;   in Loop: Header=BB8_1613 Depth=1
	s_or_b64 exec, exec, s[20:21]
	s_waitcnt vmcnt(0)
	global_load_dwordx2 v[4:5], v[2:3], off offset:16
	s_waitcnt vmcnt(0)
	v_cmp_eq_u64_e32 vcc, 0, v[4:5]
	s_cbranch_vccnz .LBB8_1684
; %bb.1683:                             ;   in Loop: Header=BB8_1613 Depth=1
	global_load_dword v27, v[2:3], off offset:24
	s_waitcnt vmcnt(0)
	v_and_b32_e32 v2, 0xffffff, v27
	v_readfirstlane_b32 m0, v2
	global_store_dwordx2 v[4:5], v[27:28], off
	s_sendmsg sendmsg(MSG_INTERRUPT)
.LBB8_1684:                             ;   in Loop: Header=BB8_1613 Depth=1
	s_or_b64 exec, exec, s[18:19]
	v_add_co_u32_e32 v2, vcc, v26, v42
	v_addc_co_u32_e32 v3, vcc, 0, v32, vcc
	s_branch .LBB8_1688
.LBB8_1685:                             ;   in Loop: Header=BB8_1688 Depth=2
	s_or_b64 exec, exec, s[18:19]
	v_readfirstlane_b32 s11, v4
	s_cmp_eq_u32 s11, 0
	s_cbranch_scc1 .LBB8_1687
; %bb.1686:                             ;   in Loop: Header=BB8_1688 Depth=2
	s_sleep 1
	s_cbranch_execnz .LBB8_1688
	s_branch .LBB8_1690
.LBB8_1687:                             ;   in Loop: Header=BB8_1613 Depth=1
	s_branch .LBB8_1690
.LBB8_1688:                             ;   Parent Loop BB8_1613 Depth=1
                                        ; =>  This Inner Loop Header: Depth=2
	v_mov_b32_e32 v4, 1
	s_and_saveexec_b64 s[18:19], s[6:7]
	s_cbranch_execz .LBB8_1685
; %bb.1689:                             ;   in Loop: Header=BB8_1688 Depth=2
	global_load_dword v4, v[29:30], off offset:20 glc
	s_waitcnt vmcnt(0)
	buffer_wbinvl1_vol
	v_and_b32_e32 v4, 1, v4
	s_branch .LBB8_1685
.LBB8_1690:                             ;   in Loop: Header=BB8_1613 Depth=1
	global_load_dwordx4 v[2:5], v[2:3], off
	s_and_saveexec_b64 s[18:19], s[6:7]
	s_cbranch_execz .LBB8_1612
; %bb.1691:                             ;   in Loop: Header=BB8_1613 Depth=1
	global_load_dwordx2 v[4:5], v28, s[50:51] offset:40
	global_load_dwordx2 v[12:13], v28, s[50:51] offset:24 glc
	global_load_dwordx2 v[14:15], v28, s[50:51]
	v_mov_b32_e32 v9, s17
	s_waitcnt vmcnt(2)
	v_add_co_u32_e32 v10, vcc, 1, v4
	v_addc_co_u32_e32 v11, vcc, 0, v5, vcc
	v_add_co_u32_e32 v8, vcc, s16, v10
	v_addc_co_u32_e32 v9, vcc, v11, v9, vcc
	v_cmp_eq_u64_e32 vcc, 0, v[8:9]
	v_cndmask_b32_e32 v9, v9, v11, vcc
	v_cndmask_b32_e32 v8, v8, v10, vcc
	v_and_b32_e32 v5, v9, v5
	v_and_b32_e32 v4, v8, v4
	v_mul_lo_u32 v5, v5, 24
	v_mul_hi_u32 v11, v4, 24
	v_mul_lo_u32 v4, v4, 24
	s_waitcnt vmcnt(1)
	v_mov_b32_e32 v10, v12
	v_add_u32_e32 v5, v11, v5
	s_waitcnt vmcnt(0)
	v_add_co_u32_e32 v4, vcc, v14, v4
	v_addc_co_u32_e32 v5, vcc, v15, v5, vcc
	global_store_dwordx2 v[4:5], v[12:13], off
	v_mov_b32_e32 v11, v13
	s_waitcnt vmcnt(0)
	global_atomic_cmpswap_x2 v[10:11], v28, v[8:11], s[50:51] offset:24 glc
	s_waitcnt vmcnt(0)
	v_cmp_ne_u64_e32 vcc, v[10:11], v[12:13]
	s_and_b64 exec, exec, vcc
	s_cbranch_execz .LBB8_1612
; %bb.1692:                             ;   in Loop: Header=BB8_1613 Depth=1
	s_mov_b64 s[6:7], 0
.LBB8_1693:                             ;   Parent Loop BB8_1613 Depth=1
                                        ; =>  This Inner Loop Header: Depth=2
	s_sleep 1
	global_store_dwordx2 v[4:5], v[10:11], off
	s_waitcnt vmcnt(0)
	global_atomic_cmpswap_x2 v[12:13], v28, v[8:11], s[50:51] offset:24 glc
	s_waitcnt vmcnt(0)
	v_cmp_eq_u64_e32 vcc, v[12:13], v[10:11]
	v_mov_b32_e32 v10, v12
	s_or_b64 s[6:7], vcc, s[6:7]
	v_mov_b32_e32 v11, v13
	s_andn2_b64 exec, exec, s[6:7]
	s_cbranch_execnz .LBB8_1693
	s_branch .LBB8_1612
.LBB8_1694:
	s_mov_b64 s[6:7], 0
	s_branch .LBB8_1696
.LBB8_1695:
	s_mov_b64 s[6:7], -1
                                        ; implicit-def: $vgpr2_vgpr3
.LBB8_1696:
	s_and_b64 vcc, exec, s[6:7]
	s_cbranch_vccz .LBB8_1723
; %bb.1697:
	v_readfirstlane_b32 s6, v43
	v_mov_b32_e32 v8, 0
	v_mov_b32_e32 v9, 0
	v_cmp_eq_u32_e64 s[6:7], s6, v43
	s_and_saveexec_b64 s[8:9], s[6:7]
	s_cbranch_execz .LBB8_1703
; %bb.1698:
	s_waitcnt vmcnt(0)
	v_mov_b32_e32 v2, 0
	global_load_dwordx2 v[5:6], v2, s[50:51] offset:24 glc
	s_waitcnt vmcnt(0)
	buffer_wbinvl1_vol
	global_load_dwordx2 v[3:4], v2, s[50:51] offset:40
	global_load_dwordx2 v[7:8], v2, s[50:51]
	s_waitcnt vmcnt(1)
	v_and_b32_e32 v3, v3, v5
	v_and_b32_e32 v4, v4, v6
	v_mul_lo_u32 v4, v4, 24
	v_mul_hi_u32 v9, v3, 24
	v_mul_lo_u32 v3, v3, 24
	v_add_u32_e32 v4, v9, v4
	s_waitcnt vmcnt(0)
	v_add_co_u32_e32 v3, vcc, v7, v3
	v_addc_co_u32_e32 v4, vcc, v8, v4, vcc
	global_load_dwordx2 v[3:4], v[3:4], off glc
	s_waitcnt vmcnt(0)
	global_atomic_cmpswap_x2 v[8:9], v2, v[3:6], s[50:51] offset:24 glc
	s_waitcnt vmcnt(0)
	buffer_wbinvl1_vol
	v_cmp_ne_u64_e32 vcc, v[8:9], v[5:6]
	s_and_saveexec_b64 s[12:13], vcc
	s_cbranch_execz .LBB8_1702
; %bb.1699:
	s_mov_b64 s[14:15], 0
.LBB8_1700:                             ; =>This Inner Loop Header: Depth=1
	s_sleep 1
	global_load_dwordx2 v[3:4], v2, s[50:51] offset:40
	global_load_dwordx2 v[10:11], v2, s[50:51]
	v_mov_b32_e32 v5, v8
	v_mov_b32_e32 v6, v9
	s_waitcnt vmcnt(1)
	v_and_b32_e32 v3, v3, v5
	s_waitcnt vmcnt(0)
	v_mad_u64_u32 v[7:8], s[16:17], v3, 24, v[10:11]
	v_and_b32_e32 v4, v4, v6
	v_mov_b32_e32 v3, v8
	v_mad_u64_u32 v[3:4], s[16:17], v4, 24, v[3:4]
	v_mov_b32_e32 v8, v3
	global_load_dwordx2 v[3:4], v[7:8], off glc
	s_waitcnt vmcnt(0)
	global_atomic_cmpswap_x2 v[8:9], v2, v[3:6], s[50:51] offset:24 glc
	s_waitcnt vmcnt(0)
	buffer_wbinvl1_vol
	v_cmp_eq_u64_e32 vcc, v[8:9], v[5:6]
	s_or_b64 s[14:15], vcc, s[14:15]
	s_andn2_b64 exec, exec, s[14:15]
	s_cbranch_execnz .LBB8_1700
; %bb.1701:
	s_or_b64 exec, exec, s[14:15]
.LBB8_1702:
	s_or_b64 exec, exec, s[12:13]
.LBB8_1703:
	s_or_b64 exec, exec, s[8:9]
	s_waitcnt vmcnt(0)
	v_mov_b32_e32 v2, 0
	global_load_dwordx2 v[10:11], v2, s[50:51] offset:40
	global_load_dwordx4 v[4:7], v2, s[50:51]
	v_readfirstlane_b32 s8, v8
	v_readfirstlane_b32 s9, v9
	s_mov_b64 s[12:13], exec
	s_waitcnt vmcnt(1)
	v_readfirstlane_b32 s14, v10
	v_readfirstlane_b32 s15, v11
	s_and_b64 s[14:15], s[8:9], s[14:15]
	s_mul_i32 s11, s15, 24
	s_mul_hi_u32 s16, s14, 24
	s_mul_i32 s17, s14, 24
	s_add_i32 s11, s16, s11
	v_mov_b32_e32 v3, s11
	s_waitcnt vmcnt(0)
	v_add_co_u32_e32 v8, vcc, s17, v4
	v_addc_co_u32_e32 v9, vcc, v5, v3, vcc
	s_and_saveexec_b64 s[16:17], s[6:7]
	s_cbranch_execz .LBB8_1705
; %bb.1704:
	v_mov_b32_e32 v10, s12
	v_mov_b32_e32 v11, s13
	;; [unrolled: 1-line block ×4, first 2 shown]
	global_store_dwordx4 v[8:9], v[10:13], off offset:8
.LBB8_1705:
	s_or_b64 exec, exec, s[16:17]
	s_lshl_b64 s[12:13], s[14:15], 12
	v_mov_b32_e32 v3, s13
	v_add_co_u32_e32 v10, vcc, s12, v6
	v_addc_co_u32_e32 v11, vcc, v7, v3, vcc
	s_movk_i32 s11, 0xff1f
	v_and_or_b32 v0, v0, s11, 32
	s_mov_b32 s12, 0
	v_mov_b32_e32 v3, v2
	v_readfirstlane_b32 s16, v10
	v_readfirstlane_b32 s17, v11
	v_add_co_u32_e32 v6, vcc, v10, v42
	s_mov_b32 s13, s12
	s_mov_b32 s14, s12
	;; [unrolled: 1-line block ×3, first 2 shown]
	s_nop 0
	global_store_dwordx4 v42, v[0:3], s[16:17]
	v_addc_co_u32_e32 v7, vcc, 0, v11, vcc
	v_mov_b32_e32 v0, s12
	v_mov_b32_e32 v1, s13
	;; [unrolled: 1-line block ×4, first 2 shown]
	global_store_dwordx4 v42, v[0:3], s[16:17] offset:16
	global_store_dwordx4 v42, v[0:3], s[16:17] offset:32
	global_store_dwordx4 v42, v[0:3], s[16:17] offset:48
	s_and_saveexec_b64 s[12:13], s[6:7]
	s_cbranch_execz .LBB8_1713
; %bb.1706:
	v_mov_b32_e32 v10, 0
	global_load_dwordx2 v[13:14], v10, s[50:51] offset:32 glc
	global_load_dwordx2 v[0:1], v10, s[50:51] offset:40
	v_mov_b32_e32 v11, s8
	v_mov_b32_e32 v12, s9
	s_waitcnt vmcnt(0)
	v_readfirstlane_b32 s14, v0
	v_readfirstlane_b32 s15, v1
	s_and_b64 s[14:15], s[14:15], s[8:9]
	s_mul_i32 s11, s15, 24
	s_mul_hi_u32 s15, s14, 24
	s_mul_i32 s14, s14, 24
	s_add_i32 s11, s15, s11
	v_mov_b32_e32 v0, s11
	v_add_co_u32_e32 v4, vcc, s14, v4
	v_addc_co_u32_e32 v5, vcc, v5, v0, vcc
	global_store_dwordx2 v[4:5], v[13:14], off
	s_waitcnt vmcnt(0)
	global_atomic_cmpswap_x2 v[2:3], v10, v[11:14], s[50:51] offset:32 glc
	s_waitcnt vmcnt(0)
	v_cmp_ne_u64_e32 vcc, v[2:3], v[13:14]
	s_and_saveexec_b64 s[14:15], vcc
	s_cbranch_execz .LBB8_1709
; %bb.1707:
	s_mov_b64 s[16:17], 0
.LBB8_1708:                             ; =>This Inner Loop Header: Depth=1
	s_sleep 1
	global_store_dwordx2 v[4:5], v[2:3], off
	v_mov_b32_e32 v0, s8
	v_mov_b32_e32 v1, s9
	s_waitcnt vmcnt(0)
	global_atomic_cmpswap_x2 v[0:1], v10, v[0:3], s[50:51] offset:32 glc
	s_waitcnt vmcnt(0)
	v_cmp_eq_u64_e32 vcc, v[0:1], v[2:3]
	v_mov_b32_e32 v3, v1
	s_or_b64 s[16:17], vcc, s[16:17]
	v_mov_b32_e32 v2, v0
	s_andn2_b64 exec, exec, s[16:17]
	s_cbranch_execnz .LBB8_1708
.LBB8_1709:
	s_or_b64 exec, exec, s[14:15]
	v_mov_b32_e32 v3, 0
	global_load_dwordx2 v[0:1], v3, s[50:51] offset:16
	s_mov_b64 s[14:15], exec
	v_mbcnt_lo_u32_b32 v2, s14, 0
	v_mbcnt_hi_u32_b32 v2, s15, v2
	v_cmp_eq_u32_e32 vcc, 0, v2
	s_and_saveexec_b64 s[16:17], vcc
	s_cbranch_execz .LBB8_1711
; %bb.1710:
	s_bcnt1_i32_b64 s11, s[14:15]
	v_mov_b32_e32 v2, s11
	s_waitcnt vmcnt(0)
	global_atomic_add_x2 v[0:1], v[2:3], off offset:8
.LBB8_1711:
	s_or_b64 exec, exec, s[16:17]
	s_waitcnt vmcnt(0)
	global_load_dwordx2 v[2:3], v[0:1], off offset:16
	s_waitcnt vmcnt(0)
	v_cmp_eq_u64_e32 vcc, 0, v[2:3]
	s_cbranch_vccnz .LBB8_1713
; %bb.1712:
	global_load_dword v0, v[0:1], off offset:24
	v_mov_b32_e32 v1, 0
	s_waitcnt vmcnt(0)
	global_store_dwordx2 v[2:3], v[0:1], off
	v_and_b32_e32 v0, 0xffffff, v0
	v_readfirstlane_b32 m0, v0
	s_sendmsg sendmsg(MSG_INTERRUPT)
.LBB8_1713:
	s_or_b64 exec, exec, s[12:13]
	s_branch .LBB8_1717
.LBB8_1714:                             ;   in Loop: Header=BB8_1717 Depth=1
	s_or_b64 exec, exec, s[12:13]
	v_readfirstlane_b32 s11, v0
	s_cmp_eq_u32 s11, 0
	s_cbranch_scc1 .LBB8_1716
; %bb.1715:                             ;   in Loop: Header=BB8_1717 Depth=1
	s_sleep 1
	s_cbranch_execnz .LBB8_1717
	s_branch .LBB8_1719
.LBB8_1716:
	s_branch .LBB8_1719
.LBB8_1717:                             ; =>This Inner Loop Header: Depth=1
	v_mov_b32_e32 v0, 1
	s_and_saveexec_b64 s[12:13], s[6:7]
	s_cbranch_execz .LBB8_1714
; %bb.1718:                             ;   in Loop: Header=BB8_1717 Depth=1
	global_load_dword v0, v[8:9], off offset:20 glc
	s_waitcnt vmcnt(0)
	buffer_wbinvl1_vol
	v_and_b32_e32 v0, 1, v0
	s_branch .LBB8_1714
.LBB8_1719:
	global_load_dwordx2 v[2:3], v[6:7], off
	s_and_saveexec_b64 s[12:13], s[6:7]
	s_cbranch_execz .LBB8_1722
; %bb.1720:
	v_mov_b32_e32 v8, 0
	global_load_dwordx2 v[0:1], v8, s[50:51] offset:40
	global_load_dwordx2 v[9:10], v8, s[50:51] offset:24 glc
	global_load_dwordx2 v[11:12], v8, s[50:51]
	v_mov_b32_e32 v5, s9
	s_mov_b64 s[6:7], 0
	s_waitcnt vmcnt(2)
	v_add_co_u32_e32 v6, vcc, 1, v0
	v_addc_co_u32_e32 v7, vcc, 0, v1, vcc
	v_add_co_u32_e32 v4, vcc, s8, v6
	v_addc_co_u32_e32 v5, vcc, v7, v5, vcc
	v_cmp_eq_u64_e32 vcc, 0, v[4:5]
	v_cndmask_b32_e32 v5, v5, v7, vcc
	v_cndmask_b32_e32 v4, v4, v6, vcc
	v_and_b32_e32 v1, v5, v1
	v_and_b32_e32 v0, v4, v0
	v_mul_lo_u32 v1, v1, 24
	v_mul_hi_u32 v7, v0, 24
	v_mul_lo_u32 v0, v0, 24
	s_waitcnt vmcnt(1)
	v_mov_b32_e32 v6, v9
	v_add_u32_e32 v1, v7, v1
	s_waitcnt vmcnt(0)
	v_add_co_u32_e32 v0, vcc, v11, v0
	v_addc_co_u32_e32 v1, vcc, v12, v1, vcc
	global_store_dwordx2 v[0:1], v[9:10], off
	v_mov_b32_e32 v7, v10
	s_waitcnt vmcnt(0)
	global_atomic_cmpswap_x2 v[6:7], v8, v[4:7], s[50:51] offset:24 glc
	s_waitcnt vmcnt(0)
	v_cmp_ne_u64_e32 vcc, v[6:7], v[9:10]
	s_and_b64 exec, exec, vcc
	s_cbranch_execz .LBB8_1722
.LBB8_1721:                             ; =>This Inner Loop Header: Depth=1
	s_sleep 1
	global_store_dwordx2 v[0:1], v[6:7], off
	s_waitcnt vmcnt(0)
	global_atomic_cmpswap_x2 v[9:10], v8, v[4:7], s[50:51] offset:24 glc
	s_waitcnt vmcnt(0)
	v_cmp_eq_u64_e32 vcc, v[9:10], v[6:7]
	v_mov_b32_e32 v6, v9
	s_or_b64 s[6:7], vcc, s[6:7]
	v_mov_b32_e32 v7, v10
	s_andn2_b64 exec, exec, s[6:7]
	s_cbranch_execnz .LBB8_1721
.LBB8_1722:
	s_or_b64 exec, exec, s[12:13]
.LBB8_1723:
	v_readfirstlane_b32 s6, v43
	s_waitcnt vmcnt(0)
	v_mov_b32_e32 v0, 0
	v_mov_b32_e32 v1, 0
	v_cmp_eq_u32_e64 s[6:7], s6, v43
	s_and_saveexec_b64 s[8:9], s[6:7]
	s_cbranch_execz .LBB8_1729
; %bb.1724:
	v_mov_b32_e32 v4, 0
	global_load_dwordx2 v[7:8], v4, s[50:51] offset:24 glc
	s_waitcnt vmcnt(0)
	buffer_wbinvl1_vol
	global_load_dwordx2 v[0:1], v4, s[50:51] offset:40
	global_load_dwordx2 v[5:6], v4, s[50:51]
	s_waitcnt vmcnt(1)
	v_and_b32_e32 v0, v0, v7
	v_and_b32_e32 v1, v1, v8
	v_mul_lo_u32 v1, v1, 24
	v_mul_hi_u32 v9, v0, 24
	v_mul_lo_u32 v0, v0, 24
	v_add_u32_e32 v1, v9, v1
	s_waitcnt vmcnt(0)
	v_add_co_u32_e32 v0, vcc, v5, v0
	v_addc_co_u32_e32 v1, vcc, v6, v1, vcc
	global_load_dwordx2 v[5:6], v[0:1], off glc
	s_waitcnt vmcnt(0)
	global_atomic_cmpswap_x2 v[0:1], v4, v[5:8], s[50:51] offset:24 glc
	s_waitcnt vmcnt(0)
	buffer_wbinvl1_vol
	v_cmp_ne_u64_e32 vcc, v[0:1], v[7:8]
	s_and_saveexec_b64 s[12:13], vcc
	s_cbranch_execz .LBB8_1728
; %bb.1725:
	s_mov_b64 s[14:15], 0
.LBB8_1726:                             ; =>This Inner Loop Header: Depth=1
	s_sleep 1
	global_load_dwordx2 v[5:6], v4, s[50:51] offset:40
	global_load_dwordx2 v[9:10], v4, s[50:51]
	v_mov_b32_e32 v8, v1
	v_mov_b32_e32 v7, v0
	s_waitcnt vmcnt(1)
	v_and_b32_e32 v0, v5, v7
	s_waitcnt vmcnt(0)
	v_mad_u64_u32 v[0:1], s[16:17], v0, 24, v[9:10]
	v_and_b32_e32 v5, v6, v8
	v_mad_u64_u32 v[5:6], s[16:17], v5, 24, v[1:2]
	v_mov_b32_e32 v1, v5
	global_load_dwordx2 v[5:6], v[0:1], off glc
	s_waitcnt vmcnt(0)
	global_atomic_cmpswap_x2 v[0:1], v4, v[5:8], s[50:51] offset:24 glc
	s_waitcnt vmcnt(0)
	buffer_wbinvl1_vol
	v_cmp_eq_u64_e32 vcc, v[0:1], v[7:8]
	s_or_b64 s[14:15], vcc, s[14:15]
	s_andn2_b64 exec, exec, s[14:15]
	s_cbranch_execnz .LBB8_1726
; %bb.1727:
	s_or_b64 exec, exec, s[14:15]
.LBB8_1728:
	s_or_b64 exec, exec, s[12:13]
.LBB8_1729:
	s_or_b64 exec, exec, s[8:9]
	v_mov_b32_e32 v5, 0
	global_load_dwordx2 v[10:11], v5, s[50:51] offset:40
	global_load_dwordx4 v[6:9], v5, s[50:51]
	v_readfirstlane_b32 s8, v0
	v_readfirstlane_b32 s9, v1
	s_mov_b64 s[12:13], exec
	s_waitcnt vmcnt(1)
	v_readfirstlane_b32 s14, v10
	v_readfirstlane_b32 s15, v11
	s_and_b64 s[14:15], s[8:9], s[14:15]
	s_mul_i32 s11, s15, 24
	s_mul_hi_u32 s16, s14, 24
	s_mul_i32 s17, s14, 24
	s_add_i32 s11, s16, s11
	v_mov_b32_e32 v0, s11
	s_waitcnt vmcnt(0)
	v_add_co_u32_e32 v10, vcc, s17, v6
	v_addc_co_u32_e32 v11, vcc, v7, v0, vcc
	s_and_saveexec_b64 s[16:17], s[6:7]
	s_cbranch_execz .LBB8_1731
; %bb.1730:
	v_mov_b32_e32 v12, s12
	v_mov_b32_e32 v13, s13
	;; [unrolled: 1-line block ×4, first 2 shown]
	global_store_dwordx4 v[10:11], v[12:15], off offset:8
.LBB8_1731:
	s_or_b64 exec, exec, s[16:17]
	s_lshl_b64 s[12:13], s[14:15], 12
	v_mov_b32_e32 v0, s13
	v_add_co_u32_e32 v1, vcc, s12, v8
	v_addc_co_u32_e32 v0, vcc, v9, v0, vcc
	s_movk_i32 s11, 0xff1d
	v_and_or_b32 v2, v2, s11, 34
	s_mov_b32 s12, 0
	v_mov_b32_e32 v4, 10
	v_readfirstlane_b32 s16, v1
	v_readfirstlane_b32 s17, v0
	s_mov_b32 s13, s12
	s_mov_b32 s14, s12
	;; [unrolled: 1-line block ×3, first 2 shown]
	s_nop 1
	global_store_dwordx4 v42, v[2:5], s[16:17]
	v_mov_b32_e32 v0, s12
	v_mov_b32_e32 v1, s13
	v_mov_b32_e32 v2, s14
	v_mov_b32_e32 v3, s15
	global_store_dwordx4 v42, v[0:3], s[16:17] offset:16
	global_store_dwordx4 v42, v[0:3], s[16:17] offset:32
	;; [unrolled: 1-line block ×3, first 2 shown]
	s_and_saveexec_b64 s[12:13], s[6:7]
	s_cbranch_execz .LBB8_1739
; %bb.1732:
	v_mov_b32_e32 v8, 0
	global_load_dwordx2 v[14:15], v8, s[50:51] offset:32 glc
	global_load_dwordx2 v[0:1], v8, s[50:51] offset:40
	v_mov_b32_e32 v12, s8
	v_mov_b32_e32 v13, s9
	s_waitcnt vmcnt(0)
	v_readfirstlane_b32 s14, v0
	v_readfirstlane_b32 s15, v1
	s_and_b64 s[14:15], s[14:15], s[8:9]
	s_mul_i32 s11, s15, 24
	s_mul_hi_u32 s15, s14, 24
	s_mul_i32 s14, s14, 24
	s_add_i32 s11, s15, s11
	v_mov_b32_e32 v0, s11
	v_add_co_u32_e32 v4, vcc, s14, v6
	v_addc_co_u32_e32 v5, vcc, v7, v0, vcc
	global_store_dwordx2 v[4:5], v[14:15], off
	s_waitcnt vmcnt(0)
	global_atomic_cmpswap_x2 v[2:3], v8, v[12:15], s[50:51] offset:32 glc
	s_waitcnt vmcnt(0)
	v_cmp_ne_u64_e32 vcc, v[2:3], v[14:15]
	s_and_saveexec_b64 s[14:15], vcc
	s_cbranch_execz .LBB8_1735
; %bb.1733:
	s_mov_b64 s[16:17], 0
.LBB8_1734:                             ; =>This Inner Loop Header: Depth=1
	s_sleep 1
	global_store_dwordx2 v[4:5], v[2:3], off
	v_mov_b32_e32 v0, s8
	v_mov_b32_e32 v1, s9
	s_waitcnt vmcnt(0)
	global_atomic_cmpswap_x2 v[0:1], v8, v[0:3], s[50:51] offset:32 glc
	s_waitcnt vmcnt(0)
	v_cmp_eq_u64_e32 vcc, v[0:1], v[2:3]
	v_mov_b32_e32 v3, v1
	s_or_b64 s[16:17], vcc, s[16:17]
	v_mov_b32_e32 v2, v0
	s_andn2_b64 exec, exec, s[16:17]
	s_cbranch_execnz .LBB8_1734
.LBB8_1735:
	s_or_b64 exec, exec, s[14:15]
	v_mov_b32_e32 v3, 0
	global_load_dwordx2 v[0:1], v3, s[50:51] offset:16
	s_mov_b64 s[14:15], exec
	v_mbcnt_lo_u32_b32 v2, s14, 0
	v_mbcnt_hi_u32_b32 v2, s15, v2
	v_cmp_eq_u32_e32 vcc, 0, v2
	s_and_saveexec_b64 s[16:17], vcc
	s_cbranch_execz .LBB8_1737
; %bb.1736:
	s_bcnt1_i32_b64 s11, s[14:15]
	v_mov_b32_e32 v2, s11
	s_waitcnt vmcnt(0)
	global_atomic_add_x2 v[0:1], v[2:3], off offset:8
.LBB8_1737:
	s_or_b64 exec, exec, s[16:17]
	s_waitcnt vmcnt(0)
	global_load_dwordx2 v[2:3], v[0:1], off offset:16
	s_waitcnt vmcnt(0)
	v_cmp_eq_u64_e32 vcc, 0, v[2:3]
	s_cbranch_vccnz .LBB8_1739
; %bb.1738:
	global_load_dword v0, v[0:1], off offset:24
	v_mov_b32_e32 v1, 0
	s_waitcnt vmcnt(0)
	global_store_dwordx2 v[2:3], v[0:1], off
	v_and_b32_e32 v0, 0xffffff, v0
	v_readfirstlane_b32 m0, v0
	s_sendmsg sendmsg(MSG_INTERRUPT)
.LBB8_1739:
	s_or_b64 exec, exec, s[12:13]
	s_branch .LBB8_1743
.LBB8_1740:                             ;   in Loop: Header=BB8_1743 Depth=1
	s_or_b64 exec, exec, s[12:13]
	v_readfirstlane_b32 s11, v0
	s_cmp_eq_u32 s11, 0
	s_cbranch_scc1 .LBB8_1742
; %bb.1741:                             ;   in Loop: Header=BB8_1743 Depth=1
	s_sleep 1
	s_cbranch_execnz .LBB8_1743
	s_branch .LBB8_1745
.LBB8_1742:
	s_branch .LBB8_1745
.LBB8_1743:                             ; =>This Inner Loop Header: Depth=1
	v_mov_b32_e32 v0, 1
	s_and_saveexec_b64 s[12:13], s[6:7]
	s_cbranch_execz .LBB8_1740
; %bb.1744:                             ;   in Loop: Header=BB8_1743 Depth=1
	global_load_dword v0, v[10:11], off offset:20 glc
	s_waitcnt vmcnt(0)
	buffer_wbinvl1_vol
	v_and_b32_e32 v0, 1, v0
	s_branch .LBB8_1740
.LBB8_1745:
	s_and_saveexec_b64 s[12:13], s[6:7]
	s_cbranch_execz .LBB8_1748
; %bb.1746:
	v_mov_b32_e32 v6, 0
	global_load_dwordx2 v[2:3], v6, s[50:51] offset:40
	global_load_dwordx2 v[7:8], v6, s[50:51] offset:24 glc
	global_load_dwordx2 v[4:5], v6, s[50:51]
	v_mov_b32_e32 v1, s9
	s_mov_b64 s[6:7], 0
	s_waitcnt vmcnt(2)
	v_add_co_u32_e32 v9, vcc, 1, v2
	v_addc_co_u32_e32 v10, vcc, 0, v3, vcc
	v_add_co_u32_e32 v0, vcc, s8, v9
	v_addc_co_u32_e32 v1, vcc, v10, v1, vcc
	v_cmp_eq_u64_e32 vcc, 0, v[0:1]
	v_cndmask_b32_e32 v1, v1, v10, vcc
	v_cndmask_b32_e32 v0, v0, v9, vcc
	v_and_b32_e32 v3, v1, v3
	v_and_b32_e32 v2, v0, v2
	v_mul_lo_u32 v3, v3, 24
	v_mul_hi_u32 v9, v2, 24
	v_mul_lo_u32 v10, v2, 24
	s_waitcnt vmcnt(1)
	v_mov_b32_e32 v2, v7
	v_add_u32_e32 v3, v9, v3
	s_waitcnt vmcnt(0)
	v_add_co_u32_e32 v4, vcc, v4, v10
	v_addc_co_u32_e32 v5, vcc, v5, v3, vcc
	global_store_dwordx2 v[4:5], v[7:8], off
	v_mov_b32_e32 v3, v8
	s_waitcnt vmcnt(0)
	global_atomic_cmpswap_x2 v[2:3], v6, v[0:3], s[50:51] offset:24 glc
	s_waitcnt vmcnt(0)
	v_cmp_ne_u64_e32 vcc, v[2:3], v[7:8]
	s_and_b64 exec, exec, vcc
	s_cbranch_execz .LBB8_1748
.LBB8_1747:                             ; =>This Inner Loop Header: Depth=1
	s_sleep 1
	global_store_dwordx2 v[4:5], v[2:3], off
	s_waitcnt vmcnt(0)
	global_atomic_cmpswap_x2 v[7:8], v6, v[0:3], s[50:51] offset:24 glc
	s_waitcnt vmcnt(0)
	v_cmp_eq_u64_e32 vcc, v[7:8], v[2:3]
	v_mov_b32_e32 v2, v7
	s_or_b64 s[6:7], vcc, s[6:7]
	v_mov_b32_e32 v3, v8
	s_andn2_b64 exec, exec, s[6:7]
	s_cbranch_execnz .LBB8_1747
.LBB8_1748:
	s_or_b64 exec, exec, s[12:13]
	buffer_load_dword v0, off, s[0:3], 0 offset:48
	buffer_load_dword v1, off, s[0:3], 0 offset:52
	s_waitcnt vmcnt(0)
	flat_load_dword v2, v[0:1]
	s_waitcnt vmcnt(0) lgkmcnt(0)
	v_add_u32_e32 v2, 1, v2
	flat_store_dword v[0:1], v2
.LBB8_1749:
	s_or_b64 exec, exec, s[48:49]
	s_add_u32 s8, s4, 16
	s_addc_u32 s9, s5, 0
	s_mov_b32 s12, s53
	s_mov_b32 s13, s52
	;; [unrolled: 1-line block ×3, first 2 shown]
	s_getpc_b64 s[4:5]
	s_add_u32 s4, s4, _ZN8migraphx4test4failEv@rel32@lo+4
	s_addc_u32 s5, s5, _ZN8migraphx4test4failEv@rel32@hi+12
	s_swappc_b64 s[30:31], s[4:5]
	; divergent unreachable
.LBB8_1750:
	s_andn2_saveexec_b64 s[4:5], s[46:47]
; %bb.1751:
	s_mov_b64 s[44:45], exec
; %bb.1752:
	s_or_b64 exec, exec, s[4:5]
	s_and_saveexec_b64 s[4:5], s[44:45]
	s_endpgm
	.section	.rodata,"a",@progbits
	.p2align	6, 0x0
	.amdhsa_kernel gpu_test_kernel
		.amdhsa_group_segment_fixed_size 0
		.amdhsa_private_segment_fixed_size 160
		.amdhsa_kernarg_size 272
		.amdhsa_user_sgpr_count 8
		.amdhsa_user_sgpr_private_segment_buffer 1
		.amdhsa_user_sgpr_dispatch_ptr 0
		.amdhsa_user_sgpr_queue_ptr 0
		.amdhsa_user_sgpr_kernarg_segment_ptr 1
		.amdhsa_user_sgpr_dispatch_id 0
		.amdhsa_user_sgpr_flat_scratch_init 1
		.amdhsa_user_sgpr_private_segment_size 0
		.amdhsa_uses_dynamic_stack 0
		.amdhsa_system_sgpr_private_segment_wavefront_offset 1
		.amdhsa_system_sgpr_workgroup_id_x 1
		.amdhsa_system_sgpr_workgroup_id_y 1
		.amdhsa_system_sgpr_workgroup_id_z 1
		.amdhsa_system_sgpr_workgroup_info 0
		.amdhsa_system_vgpr_workitem_id 0
		.amdhsa_next_free_vgpr 56
		.amdhsa_next_free_sgpr 60
		.amdhsa_reserve_vcc 1
		.amdhsa_reserve_flat_scratch 1
		.amdhsa_float_round_mode_32 0
		.amdhsa_float_round_mode_16_64 0
		.amdhsa_float_denorm_mode_32 3
		.amdhsa_float_denorm_mode_16_64 3
		.amdhsa_dx10_clamp 1
		.amdhsa_ieee_mode 1
		.amdhsa_fp16_overflow 0
		.amdhsa_exception_fp_ieee_invalid_op 0
		.amdhsa_exception_fp_denorm_src 0
		.amdhsa_exception_fp_ieee_div_zero 0
		.amdhsa_exception_fp_ieee_overflow 0
		.amdhsa_exception_fp_ieee_underflow 0
		.amdhsa_exception_fp_ieee_inexact 0
		.amdhsa_exception_int_div_zero 0
	.end_amdhsa_kernel
	.text
.Lfunc_end8:
	.size	gpu_test_kernel, .Lfunc_end8-gpu_test_kernel
                                        ; -- End function
	.section	.AMDGPU.csdata,"",@progbits
; Kernel info:
; codeLenInByte = 59324
; NumSgprs: 66
; NumVgprs: 56
; ScratchSize: 160
; MemoryBound: 0
; FloatMode: 240
; IeeeMode: 1
; LDSByteSize: 0 bytes/workgroup (compile time only)
; SGPRBlocks: 8
; VGPRBlocks: 13
; NumSGPRsForWavesPerEU: 66
; NumVGPRsForWavesPerEU: 56
; Occupancy: 4
; WaveLimiterHint : 1
; COMPUTE_PGM_RSRC2:SCRATCH_EN: 1
; COMPUTE_PGM_RSRC2:USER_SGPR: 8
; COMPUTE_PGM_RSRC2:TRAP_HANDLER: 0
; COMPUTE_PGM_RSRC2:TGID_X_EN: 1
; COMPUTE_PGM_RSRC2:TGID_Y_EN: 1
; COMPUTE_PGM_RSRC2:TGID_Z_EN: 1
; COMPUTE_PGM_RSRC2:TIDIG_COMP_CNT: 0
	.type	.str,@object                    ; @.str
	.section	.rodata.str1.1,"aMS",@progbits,1
.str:
	.asciz	"arr == original"
	.size	.str, 16

	.type	__PRETTY_FUNCTION__._ZL19sort_already_sortedRN8migraphx4test12test_managerE,@object ; @__PRETTY_FUNCTION__._ZL19sort_already_sortedRN8migraphx4test12test_managerE
__PRETTY_FUNCTION__._ZL19sort_already_sortedRN8migraphx4test12test_managerE:
	.asciz	"void sort_already_sorted(migraphx::test::test_manager &)"
	.size	__PRETTY_FUNCTION__._ZL19sort_already_sortedRN8migraphx4test12test_managerE, 57

	.type	.str.1,@object                  ; @.str.1
.str.1:
	.asciz	"/root/src/amdgpu-assembly/repos/ROCm__AMDMIGraphX/_shim/test_algorithm_21_shim.cpp"
	.size	.str.1, 83

	.type	.str.2,@object                  ; @.str.2
.str.2:
	.asciz	"    FAILED: "
	.size	.str.2, 13

	.type	.str.3,@object                  ; @.str.3
.str.3:
	.asciz	" [ "
	.size	.str.3, 4

	.type	.str.4,@object                  ; @.str.4
.str.4:
	.asciz	" ]"
	.size	.str.4, 3

	.type	.str.5,@object                  ; @.str.5
.str.5:
	.asciz	"%s"
	.size	.str.5, 3

	.type	.str.6,@object                  ; @.str.6
.str.6:
	.asciz	"%c"
	.size	.str.6, 3

	.type	.str.7,@object                  ; @.str.7
.str.7:
	.asciz	"%li"
	.size	.str.7, 4

	.type	.str.8,@object                  ; @.str.8
.str.8:
	.asciz	" "
	.size	.str.8, 2

	.type	.str.10,@object                 ; @.str.10
.str.10:
	.asciz	"=="
	.size	.str.10, 3

	.type	.str.11,@object                 ; @.str.11
.str.11:
	.asciz	", "
	.size	.str.11, 3

	.type	.str.12,@object                 ; @.str.12
.str.12:
	.asciz	"arr == expected"
	.size	.str.12, 16

	.type	__PRETTY_FUNCTION__._ZL19sort_reverse_sortedRN8migraphx4test12test_managerE,@object ; @__PRETTY_FUNCTION__._ZL19sort_reverse_sortedRN8migraphx4test12test_managerE
__PRETTY_FUNCTION__._ZL19sort_reverse_sortedRN8migraphx4test12test_managerE:
	.asciz	"void sort_reverse_sorted(migraphx::test::test_manager &)"
	.size	__PRETTY_FUNCTION__._ZL19sort_reverse_sortedRN8migraphx4test12test_managerE, 57

	.type	__PRETTY_FUNCTION__._ZL15sort_duplicatesRN8migraphx4test12test_managerE,@object ; @__PRETTY_FUNCTION__._ZL15sort_duplicatesRN8migraphx4test12test_managerE
__PRETTY_FUNCTION__._ZL15sort_duplicatesRN8migraphx4test12test_managerE:
	.asciz	"void sort_duplicates(migraphx::test::test_manager &)"
	.size	__PRETTY_FUNCTION__._ZL15sort_duplicatesRN8migraphx4test12test_managerE, 53

	.type	__PRETTY_FUNCTION__._ZL23sort_default_comparatorRN8migraphx4test12test_managerE,@object ; @__PRETTY_FUNCTION__._ZL23sort_default_comparatorRN8migraphx4test12test_managerE
__PRETTY_FUNCTION__._ZL23sort_default_comparatorRN8migraphx4test12test_managerE:
	.asciz	"void sort_default_comparator(migraphx::test::test_manager &)"
	.size	__PRETTY_FUNCTION__._ZL23sort_default_comparatorRN8migraphx4test12test_managerE, 61

	.type	__hip_cuid_3388209f18c753d9,@object ; @__hip_cuid_3388209f18c753d9
	.section	.bss,"aw",@nobits
	.globl	__hip_cuid_3388209f18c753d9
__hip_cuid_3388209f18c753d9:
	.byte	0                               ; 0x0
	.size	__hip_cuid_3388209f18c753d9, 1

	.ident	"AMD clang version 19.0.0git (https://github.com/RadeonOpenCompute/llvm-project roc-6.4.0 25133 c7fe45cf4b819c5991fe208aaa96edf142730f1d)"
	.section	".note.GNU-stack","",@progbits
	.addrsig
	.addrsig_sym __hip_cuid_3388209f18c753d9
	.amdgpu_metadata
---
amdhsa.kernels:
  - .args:
      - .offset:         0
        .size:           4
        .value_kind:     by_value
      - .address_space:  global
        .offset:         8
        .size:           8
        .value_kind:     global_buffer
      - .offset:         16
        .size:           4
        .value_kind:     hidden_block_count_x
      - .offset:         20
        .size:           4
        .value_kind:     hidden_block_count_y
      - .offset:         24
        .size:           4
        .value_kind:     hidden_block_count_z
      - .offset:         28
        .size:           2
        .value_kind:     hidden_group_size_x
      - .offset:         30
        .size:           2
        .value_kind:     hidden_group_size_y
      - .offset:         32
        .size:           2
        .value_kind:     hidden_group_size_z
      - .offset:         34
        .size:           2
        .value_kind:     hidden_remainder_x
      - .offset:         36
        .size:           2
        .value_kind:     hidden_remainder_y
      - .offset:         38
        .size:           2
        .value_kind:     hidden_remainder_z
      - .offset:         56
        .size:           8
        .value_kind:     hidden_global_offset_x
      - .offset:         64
        .size:           8
        .value_kind:     hidden_global_offset_y
      - .offset:         72
        .size:           8
        .value_kind:     hidden_global_offset_z
      - .offset:         80
        .size:           2
        .value_kind:     hidden_grid_dims
      - .offset:         96
        .size:           8
        .value_kind:     hidden_hostcall_buffer
    .group_segment_fixed_size: 0
    .kernarg_segment_align: 8
    .kernarg_segment_size: 272
    .language:       OpenCL C
    .language_version:
      - 2
      - 0
    .max_flat_workgroup_size: 1024
    .name:           gpu_test_kernel
    .private_segment_fixed_size: 160
    .sgpr_count:     66
    .sgpr_spill_count: 0
    .symbol:         gpu_test_kernel.kd
    .uniform_work_group_size: 1
    .uses_dynamic_stack: false
    .vgpr_count:     56
    .vgpr_spill_count: 0
    .wavefront_size: 64
amdhsa.target:   amdgcn-amd-amdhsa--gfx906
amdhsa.version:
  - 1
  - 2
...

	.end_amdgpu_metadata
